;; amdgpu-corpus repo=ROCm/rocFFT kind=compiled arch=gfx950 opt=O3
	.text
	.amdgcn_target "amdgcn-amd-amdhsa--gfx950"
	.amdhsa_code_object_version 6
	.protected	bluestein_single_back_len1521_dim1_dp_op_CI_CI ; -- Begin function bluestein_single_back_len1521_dim1_dp_op_CI_CI
	.globl	bluestein_single_back_len1521_dim1_dp_op_CI_CI
	.p2align	8
	.type	bluestein_single_back_len1521_dim1_dp_op_CI_CI,@function
bluestein_single_back_len1521_dim1_dp_op_CI_CI: ; @bluestein_single_back_len1521_dim1_dp_op_CI_CI
; %bb.0:
	s_load_dwordx4 s[4:7], s[0:1], 0x28
	v_mul_u32_u24_e32 v1, 0x231, v0
	v_mov_b32_e32 v243, 0
	v_add_u32_sdwa v244, s2, v1 dst_sel:DWORD dst_unused:UNUSED_PAD src0_sel:DWORD src1_sel:WORD_1
	v_mov_b32_e32 v245, v243
	s_waitcnt lgkmcnt(0)
	v_cmp_gt_u64_e32 vcc, s[4:5], v[244:245]
	s_and_saveexec_b64 s[2:3], vcc
	s_cbranch_execz .LBB0_18
; %bb.1:
	s_load_dwordx4 s[12:15], s[0:1], 0x18
	s_load_dwordx4 s[8:11], s[0:1], 0x0
	v_mov_b32_e32 v2, s6
	v_mov_b32_e32 v3, s7
	s_movk_i32 s2, 0x75
	s_waitcnt lgkmcnt(0)
	s_load_dwordx4 s[4:7], s[12:13], 0x0
	v_mul_lo_u16_sdwa v1, v1, s2 dst_sel:DWORD dst_unused:UNUSED_PAD src0_sel:WORD_1 src1_sel:DWORD
	v_sub_u16_e32 v242, v0, v1
	v_lshlrev_b32_e32 v240, 4, v242
	v_mov_b32_e32 v241, v243
	s_waitcnt lgkmcnt(0)
	v_mad_u64_u32 v[0:1], s[2:3], s6, v244, 0
	v_mov_b32_e32 v4, v1
	v_mad_u64_u32 v[4:5], s[2:3], s7, v244, v[4:5]
	v_mov_b32_e32 v1, v4
	v_mad_u64_u32 v[4:5], s[2:3], s4, v242, 0
	v_mov_b32_e32 v6, v5
	v_mad_u64_u32 v[6:7], s[2:3], s5, v242, v[6:7]
	v_mov_b32_e32 v5, v6
	v_lshl_add_u64 v[0:1], v[0:1], 4, v[2:3]
	v_lshl_add_u64 v[0:1], v[4:5], 4, v[0:1]
	v_mov_b32_e32 v6, 0x750
	global_load_dwordx4 v[52:55], v[0:1], off
	v_mad_u64_u32 v[0:1], s[2:3], s4, v6, v[0:1]
	s_mul_i32 s2, s5, 0x750
	s_nop 0
	v_add_u32_e32 v1, s2, v1
	v_mad_u64_u32 v[2:3], s[6:7], s4, v6, v[0:1]
	global_load_dwordx4 v[34:37], v240, s[8:9]
	global_load_dwordx4 v[20:23], v240, s[8:9] offset:1872
	v_add_u32_e32 v3, s2, v3
	global_load_dwordx4 v[60:63], v[0:1], off
	global_load_dwordx4 v[56:59], v[2:3], off
	global_load_dwordx4 v[8:11], v240, s[8:9] offset:3744
	v_mad_u64_u32 v[0:1], s[6:7], s4, v6, v[2:3]
	v_add_u32_e32 v1, s2, v1
	v_lshl_add_u64 v[28:29], s[8:9], 0, v[240:241]
	s_movk_i32 s3, 0x1000
	v_mad_u64_u32 v[4:5], s[6:7], s4, v6, v[0:1]
	v_add_co_u32_e32 v2, vcc, s3, v28
	v_add_u32_e32 v5, s2, v5
	s_nop 0
	v_addc_co_u32_e32 v3, vcc, 0, v29, vcc
	global_load_dwordx4 v[68:71], v[0:1], off
	global_load_dwordx4 v[64:67], v[4:5], off
	global_load_dwordx4 v[108:111], v[2:3], off offset:1520
	global_load_dwordx4 v[12:15], v[2:3], off offset:3392
	v_mad_u64_u32 v[0:1], s[6:7], s4, v6, v[4:5]
	v_add_u32_e32 v1, s2, v1
	global_load_dwordx4 v[72:75], v[0:1], off
	s_movk_i32 s3, 0x2000
	v_mad_u64_u32 v[0:1], s[6:7], s4, v6, v[0:1]
	v_add_co_u32_e32 v2, vcc, s3, v28
	v_add_u32_e32 v1, s2, v1
	s_nop 0
	v_addc_co_u32_e32 v3, vcc, 0, v29, vcc
	global_load_dwordx4 v[76:79], v[0:1], off
	global_load_dwordx4 v[112:115], v[2:3], off offset:1168
	global_load_dwordx4 v[16:19], v[2:3], off offset:3040
	v_mad_u64_u32 v[0:1], s[6:7], s4, v6, v[0:1]
	v_add_u32_e32 v1, s2, v1
	global_load_dwordx4 v[80:83], v[0:1], off
	s_movk_i32 s3, 0x3000
	v_mad_u64_u32 v[0:1], s[6:7], s4, v6, v[0:1]
	v_add_co_u32_e32 v2, vcc, s3, v28
	v_add_u32_e32 v1, s2, v1
	s_nop 0
	v_addc_co_u32_e32 v3, vcc, 0, v29, vcc
	;; [unrolled: 12-line block ×3, first 2 shown]
	global_load_dwordx4 v[92:95], v[0:1], off
	global_load_dwordx4 v[48:51], v[2:3], off offset:464
	global_load_dwordx4 v[30:33], v[2:3], off offset:2336
	s_movk_i32 s3, 0x5000
	v_mad_u64_u32 v[0:1], s[6:7], s4, v6, v[0:1]
	v_add_co_u32_e32 v2, vcc, s3, v28
	v_add_u32_e32 v1, s2, v1
	s_nop 0
	v_addc_co_u32_e32 v3, vcc, 0, v29, vcc
	global_load_dwordx4 v[96:99], v[0:1], off
	global_load_dwordx4 v[38:41], v[2:3], off offset:112
	v_mad_u64_u32 v[0:1], s[4:5], s4, v6, v[0:1]
	v_add_u32_e32 v1, s2, v1
	global_load_dwordx4 v[100:103], v[0:1], off
	global_load_dwordx4 v[4:7], v[2:3], off offset:1984
	s_load_dwordx2 s[2:3], s[0:1], 0x38
	s_load_dwordx4 s[4:7], s[14:15], 0x0
	s_mov_b32 s26, 0x42a4c3d2
	s_mov_b32 s36, 0x66966769
	;; [unrolled: 1-line block ×9, first 2 shown]
	s_waitcnt vmcnt(24)
	v_mul_f64 v[104:105], v[54:55], v[36:37]
	v_mul_f64 v[0:1], v[52:53], v[36:37]
	v_fmac_f64_e32 v[104:105], v[52:53], v[34:35]
	v_fma_f64 v[106:107], v[54:55], v[34:35], -v[0:1]
	s_waitcnt vmcnt(22)
	v_mul_f64 v[52:53], v[62:63], v[22:23]
	v_mul_f64 v[0:1], v[60:61], v[22:23]
	v_fmac_f64_e32 v[52:53], v[60:61], v[20:21]
	v_fma_f64 v[54:55], v[62:63], v[20:21], -v[0:1]
	ds_write_b128 v240, v[52:55] offset:1872
	s_waitcnt vmcnt(20)
	v_mul_f64 v[52:53], v[58:59], v[10:11]
	v_mul_f64 v[0:1], v[56:57], v[10:11]
	v_fmac_f64_e32 v[52:53], v[56:57], v[8:9]
	v_fma_f64 v[54:55], v[58:59], v[8:9], -v[0:1]
	ds_write_b128 v240, v[52:55] offset:3744
	ds_write_b128 v240, v[104:107]
	s_waitcnt vmcnt(17)
	v_mul_f64 v[52:53], v[70:71], v[110:111]
	v_mul_f64 v[0:1], v[68:69], v[110:111]
	v_fmac_f64_e32 v[52:53], v[68:69], v[108:109]
	v_fma_f64 v[54:55], v[70:71], v[108:109], -v[0:1]
	ds_write_b128 v240, v[52:55] offset:5616
	s_waitcnt vmcnt(16)
	v_mul_f64 v[52:53], v[66:67], v[14:15]
	v_mul_f64 v[0:1], v[64:65], v[14:15]
	v_fmac_f64_e32 v[52:53], v[64:65], v[12:13]
	v_fma_f64 v[54:55], v[66:67], v[12:13], -v[0:1]
	ds_write_b128 v240, v[52:55] offset:7488
	v_accvgpr_write_b32 a4, v12
	s_mov_b32 s12, 0x1ea71119
	s_mov_b32 s37, 0xbfefc445
	s_waitcnt vmcnt(13)
	v_mul_f64 v[52:53], v[74:75], v[114:115]
	v_mul_f64 v[0:1], v[72:73], v[114:115]
	v_fmac_f64_e32 v[52:53], v[72:73], v[112:113]
	v_fma_f64 v[54:55], v[74:75], v[112:113], -v[0:1]
	ds_write_b128 v240, v[52:55] offset:9360
	s_waitcnt vmcnt(12)
	v_mul_f64 v[52:53], v[78:79], v[18:19]
	v_mul_f64 v[0:1], v[76:77], v[18:19]
	v_fmac_f64_e32 v[52:53], v[76:77], v[16:17]
	v_fma_f64 v[54:55], v[78:79], v[16:17], -v[0:1]
	ds_write_b128 v240, v[52:55] offset:11232
	v_accvgpr_write_b32 a40, v112
	s_mov_b32 s0, 0xebaa3ed8
	s_mov_b32 s21, 0xbfedeba7
	s_waitcnt vmcnt(9)
	v_mul_f64 v[52:53], v[82:83], v[46:47]
	v_mul_f64 v[0:1], v[80:81], v[46:47]
	v_fmac_f64_e32 v[52:53], v[80:81], v[44:45]
	v_fma_f64 v[54:55], v[82:83], v[44:45], -v[0:1]
	ds_write_b128 v240, v[52:55] offset:13104
	s_waitcnt vmcnt(8)
	v_mul_f64 v[52:53], v[86:87], v[26:27]
	v_mul_f64 v[0:1], v[84:85], v[26:27]
	v_fmac_f64_e32 v[52:53], v[84:85], v[24:25]
	v_fma_f64 v[54:55], v[86:87], v[24:25], -v[0:1]
	ds_write_b128 v240, v[52:55] offset:14976
	s_mov_b32 s18, 0xb2365da1
	s_mov_b32 s25, 0xbfe5384d
	;; [unrolled: 1-line block ×3, first 2 shown]
	s_waitcnt vmcnt(5)
	v_mul_f64 v[52:53], v[90:91], v[50:51]
	v_mul_f64 v[0:1], v[88:89], v[50:51]
	v_fmac_f64_e32 v[52:53], v[88:89], v[48:49]
	v_fma_f64 v[54:55], v[90:91], v[48:49], -v[0:1]
	ds_write_b128 v240, v[52:55] offset:16848
	s_waitcnt vmcnt(4)
	v_mul_f64 v[52:53], v[94:95], v[32:33]
	v_mul_f64 v[0:1], v[92:93], v[32:33]
	v_fmac_f64_e32 v[52:53], v[92:93], v[30:31]
	v_fma_f64 v[54:55], v[94:95], v[30:31], -v[0:1]
	ds_write_b128 v240, v[52:55] offset:18720
	s_mov_b32 s35, 0xbfcea1e5
	s_waitcnt vmcnt(2)
	v_mul_f64 v[52:53], v[98:99], v[40:41]
	v_mul_f64 v[0:1], v[96:97], v[40:41]
	v_fmac_f64_e32 v[52:53], v[96:97], v[38:39]
	v_fma_f64 v[54:55], v[98:99], v[38:39], -v[0:1]
	ds_write_b128 v240, v[52:55] offset:20592
	s_waitcnt vmcnt(0)
	v_mul_f64 v[52:53], v[102:103], v[6:7]
	v_mul_f64 v[0:1], v[100:101], v[6:7]
	v_fmac_f64_e32 v[52:53], v[100:101], v[4:5]
	v_fma_f64 v[54:55], v[102:103], v[4:5], -v[0:1]
	ds_write_b128 v240, v[52:55] offset:22464
	s_waitcnt lgkmcnt(0)
	s_barrier
	ds_read_b128 v[84:87], v240
	ds_read_b128 v[96:99], v240 offset:1872
	ds_read_b128 v[92:95], v240 offset:3744
	;; [unrolled: 1-line block ×12, first 2 shown]
	s_waitcnt lgkmcnt(11)
	v_add_f64 v[0:1], v[84:85], v[96:97]
	v_add_f64 v[2:3], v[86:87], v[98:99]
	s_waitcnt lgkmcnt(10)
	v_add_f64 v[0:1], v[0:1], v[92:93]
	v_add_f64 v[2:3], v[2:3], v[94:95]
	;; [unrolled: 3-line block ×9, first 2 shown]
	v_accvgpr_write_b32 a35, v7
	s_waitcnt lgkmcnt(2)
	v_add_f64 v[0:1], v[0:1], v[88:89]
	v_add_f64 v[2:3], v[2:3], v[90:91]
	v_accvgpr_write_b32 a34, v6
	v_accvgpr_write_b32 a33, v5
	;; [unrolled: 1-line block ×3, first 2 shown]
	s_waitcnt lgkmcnt(1)
	v_add_f64 v[0:1], v[0:1], v[100:101]
	v_add_f64 v[2:3], v[2:3], v[102:103]
	s_waitcnt lgkmcnt(0)
	v_add_f64 v[4:5], v[96:97], -v[104:105]
	s_mov_b32 s30, 0x93053d00
	v_accvgpr_write_b32 a0, v8
	v_accvgpr_write_b32 a36, v108
	;; [unrolled: 1-line block ×8, first 2 shown]
	v_add_f64 v[52:53], v[0:1], v[104:105]
	v_add_f64 v[54:55], v[2:3], v[106:107]
	;; [unrolled: 1-line block ×4, first 2 shown]
	v_add_f64 v[6:7], v[98:99], -v[106:107]
	s_mov_b32 s15, 0x3fec55a7
	v_mul_f64 v[12:13], v[4:5], s[16:17]
	s_mov_b32 s13, 0x3fe22d96
	v_mul_f64 v[104:105], v[4:5], s[26:27]
	;; [unrolled: 2-line block ×6, first 2 shown]
	v_accvgpr_write_b32 a1, v9
	v_accvgpr_write_b32 a2, v10
	;; [unrolled: 1-line block ×6, first 2 shown]
	v_mul_f64 v[8:9], v[6:7], s[16:17]
	v_fma_f64 v[14:15], s[14:15], v[2:3], v[12:13]
	v_fma_f64 v[12:13], v[2:3], s[14:15], -v[12:13]
	v_mul_f64 v[96:97], v[6:7], s[26:27]
	v_fma_f64 v[106:107], s[12:13], v[2:3], v[104:105]
	v_fma_f64 v[104:105], v[2:3], s[12:13], -v[104:105]
	;; [unrolled: 3-line block ×6, first 2 shown]
	v_fma_f64 v[10:11], v[0:1], s[14:15], -v[8:9]
	v_add_f64 v[14:15], v[86:87], v[14:15]
	v_fmac_f64_e32 v[8:9], s[14:15], v[0:1]
	v_add_f64 v[12:13], v[86:87], v[12:13]
	v_fma_f64 v[98:99], v[0:1], s[12:13], -v[96:97]
	v_add_f64 v[106:107], v[86:87], v[106:107]
	v_fmac_f64_e32 v[96:97], s[12:13], v[0:1]
	v_add_f64 v[104:105], v[86:87], v[104:105]
	;; [unrolled: 4-line block ×6, first 2 shown]
	v_add_f64 v[86:87], v[94:95], -v[102:103]
	v_add_f64 v[10:11], v[84:85], v[10:11]
	v_add_f64 v[8:9], v[84:85], v[8:9]
	;; [unrolled: 1-line block ×13, first 2 shown]
	v_add_f64 v[84:85], v[92:93], -v[100:101]
	v_mul_f64 v[92:93], v[86:87], s[26:27]
	v_add_f64 v[6:7], v[94:95], v[102:103]
	v_fma_f64 v[94:95], v[4:5], s[12:13], -v[92:93]
	v_add_f64 v[10:11], v[94:95], v[10:11]
	v_mul_f64 v[94:95], v[84:85], s[26:27]
	v_fmac_f64_e32 v[92:93], s[12:13], v[4:5]
	v_add_f64 v[8:9], v[92:93], v[8:9]
	v_fma_f64 v[92:93], v[6:7], s[12:13], -v[94:95]
	v_add_f64 v[12:13], v[92:93], v[12:13]
	v_mul_f64 v[92:93], v[86:87], s[20:21]
	v_fma_f64 v[100:101], s[12:13], v[6:7], v[94:95]
	v_fma_f64 v[94:95], v[4:5], s[18:19], -v[92:93]
	v_add_f64 v[94:95], v[94:95], v[98:99]
	v_mul_f64 v[98:99], v[84:85], s[20:21]
	v_fmac_f64_e32 v[92:93], s[18:19], v[4:5]
	v_add_f64 v[14:15], v[100:101], v[14:15]
	v_fma_f64 v[100:101], s[18:19], v[6:7], v[98:99]
	v_add_f64 v[92:93], v[92:93], v[96:97]
	v_fma_f64 v[96:97], v[6:7], s[18:19], -v[98:99]
	v_mul_f64 v[98:99], v[86:87], s[34:35]
	v_add_f64 v[96:97], v[96:97], v[104:105]
	v_fma_f64 v[102:103], v[4:5], s[30:31], -v[98:99]
	v_mul_f64 v[104:105], v[84:85], s[34:35]
	v_fmac_f64_e32 v[98:99], s[30:31], v[4:5]
	s_mov_b32 s39, 0x3fe5384d
	s_mov_b32 s38, s24
	v_add_f64 v[100:101], v[100:101], v[106:107]
	v_fma_f64 v[106:107], s[30:31], v[6:7], v[104:105]
	v_add_f64 v[98:99], v[98:99], v[108:109]
	v_fma_f64 v[104:105], v[6:7], s[30:31], -v[104:105]
	v_mul_f64 v[108:109], v[86:87], s[38:39]
	v_add_f64 v[102:103], v[102:103], v[110:111]
	v_add_f64 v[104:105], v[104:105], v[112:113]
	v_fma_f64 v[110:111], v[4:5], s[22:23], -v[108:109]
	v_mul_f64 v[112:113], v[84:85], s[38:39]
	v_fmac_f64_e32 v[108:109], s[22:23], v[4:5]
	s_mov_b32 s29, 0x3fefc445
	s_mov_b32 s28, s36
	v_add_f64 v[106:107], v[106:107], v[114:115]
	v_fma_f64 v[114:115], s[22:23], v[6:7], v[112:113]
	v_add_f64 v[108:109], v[108:109], v[116:117]
	v_fma_f64 v[112:113], v[6:7], s[22:23], -v[112:113]
	v_mul_f64 v[116:117], v[86:87], s[28:29]
	s_mov_b32 s17, 0x3fddbe06
	v_add_f64 v[110:111], v[110:111], v[118:119]
	v_add_f64 v[112:113], v[112:113], v[120:121]
	v_fma_f64 v[118:119], v[4:5], s[0:1], -v[116:117]
	v_mul_f64 v[120:121], v[84:85], s[28:29]
	v_fmac_f64_e32 v[116:117], s[0:1], v[4:5]
	v_mul_f64 v[86:87], v[86:87], s[16:17]
	v_mul_f64 v[84:85], v[84:85], s[16:17]
	v_add_f64 v[114:115], v[114:115], v[122:123]
	v_add_f64 v[118:119], v[118:119], v[126:127]
	v_fma_f64 v[122:123], s[0:1], v[6:7], v[120:121]
	v_add_f64 v[116:117], v[116:117], v[124:125]
	v_fma_f64 v[120:121], v[6:7], s[0:1], -v[120:121]
	v_fma_f64 v[124:125], v[4:5], s[14:15], -v[86:87]
	v_fma_f64 v[126:127], s[14:15], v[6:7], v[84:85]
	v_fmac_f64_e32 v[86:87], s[14:15], v[4:5]
	v_fma_f64 v[4:5], v[6:7], s[14:15], -v[84:85]
	v_add_f64 v[6:7], v[82:83], v[90:91]
	v_add_f64 v[82:83], v[82:83], -v[90:91]
	v_add_f64 v[2:3], v[4:5], v[2:3]
	v_add_f64 v[4:5], v[80:81], v[88:89]
	v_mul_f64 v[84:85], v[82:83], s[36:37]
	v_add_f64 v[0:1], v[86:87], v[0:1]
	v_add_f64 v[80:81], v[80:81], -v[88:89]
	v_fma_f64 v[86:87], v[4:5], s[0:1], -v[84:85]
	v_add_f64 v[10:11], v[86:87], v[10:11]
	v_mul_f64 v[86:87], v[80:81], s[36:37]
	v_fmac_f64_e32 v[84:85], s[0:1], v[4:5]
	v_add_f64 v[8:9], v[84:85], v[8:9]
	v_fma_f64 v[84:85], v[6:7], s[0:1], -v[86:87]
	v_fma_f64 v[88:89], s[0:1], v[6:7], v[86:87]
	v_add_f64 v[12:13], v[84:85], v[12:13]
	v_mul_f64 v[84:85], v[82:83], s[34:35]
	v_add_f64 v[14:15], v[88:89], v[14:15]
	v_fma_f64 v[86:87], v[4:5], s[30:31], -v[84:85]
	v_mul_f64 v[88:89], v[80:81], s[34:35]
	v_fmac_f64_e32 v[84:85], s[30:31], v[4:5]
	s_mov_b32 s41, 0x3fedeba7
	s_mov_b32 s40, s20
	v_fma_f64 v[90:91], s[30:31], v[6:7], v[88:89]
	v_add_f64 v[84:85], v[84:85], v[92:93]
	v_fma_f64 v[88:89], v[6:7], s[30:31], -v[88:89]
	v_mul_f64 v[92:93], v[82:83], s[40:41]
	v_add_f64 v[86:87], v[86:87], v[94:95]
	v_add_f64 v[88:89], v[88:89], v[96:97]
	v_fma_f64 v[94:95], v[4:5], s[18:19], -v[92:93]
	v_mul_f64 v[96:97], v[80:81], s[40:41]
	v_fmac_f64_e32 v[92:93], s[18:19], v[4:5]
	v_add_f64 v[90:91], v[90:91], v[100:101]
	v_fma_f64 v[100:101], s[18:19], v[6:7], v[96:97]
	v_add_f64 v[92:93], v[92:93], v[98:99]
	v_fma_f64 v[96:97], v[6:7], s[18:19], -v[96:97]
	v_mul_f64 v[98:99], v[82:83], s[16:17]
	v_add_f64 v[94:95], v[94:95], v[102:103]
	v_add_f64 v[96:97], v[96:97], v[104:105]
	v_fma_f64 v[102:103], v[4:5], s[14:15], -v[98:99]
	v_mul_f64 v[104:105], v[80:81], s[16:17]
	v_fmac_f64_e32 v[98:99], s[14:15], v[4:5]
	v_add_f64 v[100:101], v[100:101], v[106:107]
	v_fma_f64 v[106:107], s[14:15], v[6:7], v[104:105]
	v_add_f64 v[98:99], v[98:99], v[108:109]
	v_fma_f64 v[104:105], v[6:7], s[14:15], -v[104:105]
	v_mul_f64 v[108:109], v[82:83], s[26:27]
	v_add_f64 v[102:103], v[102:103], v[110:111]
	v_add_f64 v[104:105], v[104:105], v[112:113]
	v_fma_f64 v[110:111], v[4:5], s[12:13], -v[108:109]
	v_mul_f64 v[112:113], v[80:81], s[26:27]
	v_fmac_f64_e32 v[108:109], s[12:13], v[4:5]
	v_mul_f64 v[82:83], v[82:83], s[24:25]
	v_mul_f64 v[80:81], v[80:81], s[24:25]
	v_add_f64 v[106:107], v[106:107], v[114:115]
	v_add_f64 v[110:111], v[110:111], v[118:119]
	v_fma_f64 v[114:115], s[12:13], v[6:7], v[112:113]
	v_add_f64 v[108:109], v[108:109], v[116:117]
	v_fma_f64 v[112:113], v[6:7], s[12:13], -v[112:113]
	v_fma_f64 v[116:117], v[4:5], s[22:23], -v[82:83]
	v_fma_f64 v[118:119], s[22:23], v[6:7], v[80:81]
	v_fmac_f64_e32 v[82:83], s[22:23], v[4:5]
	v_fma_f64 v[4:5], v[6:7], s[22:23], -v[80:81]
	v_add_f64 v[6:7], v[74:75], v[78:79]
	v_add_f64 v[74:75], v[74:75], -v[78:79]
	v_add_f64 v[2:3], v[4:5], v[2:3]
	v_add_f64 v[4:5], v[72:73], v[76:77]
	v_add_f64 v[72:73], v[72:73], -v[76:77]
	v_mul_f64 v[76:77], v[74:75], s[20:21]
	v_fma_f64 v[78:79], v[4:5], s[18:19], -v[76:77]
	v_add_f64 v[10:11], v[78:79], v[10:11]
	v_mul_f64 v[78:79], v[72:73], s[20:21]
	v_fmac_f64_e32 v[76:77], s[18:19], v[4:5]
	v_add_f64 v[8:9], v[76:77], v[8:9]
	v_fma_f64 v[76:77], v[6:7], s[18:19], -v[78:79]
	v_fma_f64 v[80:81], s[18:19], v[6:7], v[78:79]
	v_add_f64 v[12:13], v[76:77], v[12:13]
	v_mul_f64 v[76:77], v[74:75], s[38:39]
	v_add_f64 v[14:15], v[80:81], v[14:15]
	v_fma_f64 v[78:79], v[4:5], s[22:23], -v[76:77]
	v_mul_f64 v[80:81], v[72:73], s[38:39]
	v_fmac_f64_e32 v[76:77], s[22:23], v[4:5]
	v_add_f64 v[0:1], v[82:83], v[0:1]
	v_fma_f64 v[82:83], s[22:23], v[6:7], v[80:81]
	v_add_f64 v[76:77], v[76:77], v[84:85]
	v_fma_f64 v[80:81], v[6:7], s[22:23], -v[80:81]
	v_mul_f64 v[84:85], v[74:75], s[16:17]
	v_add_f64 v[78:79], v[78:79], v[86:87]
	v_add_f64 v[80:81], v[80:81], v[88:89]
	v_fma_f64 v[86:87], v[4:5], s[14:15], -v[84:85]
	v_mul_f64 v[88:89], v[72:73], s[16:17]
	v_fmac_f64_e32 v[84:85], s[14:15], v[4:5]
	v_add_f64 v[82:83], v[82:83], v[90:91]
	v_fma_f64 v[90:91], s[14:15], v[6:7], v[88:89]
	v_add_f64 v[84:85], v[84:85], v[92:93]
	v_fma_f64 v[88:89], v[6:7], s[14:15], -v[88:89]
	v_mul_f64 v[92:93], v[74:75], s[36:37]
	v_add_f64 v[86:87], v[86:87], v[94:95]
	v_add_f64 v[88:89], v[88:89], v[96:97]
	v_fma_f64 v[94:95], v[4:5], s[0:1], -v[92:93]
	v_mul_f64 v[96:97], v[72:73], s[36:37]
	v_fmac_f64_e32 v[92:93], s[0:1], v[4:5]
	s_mov_b32 s39, 0x3fcea1e5
	s_mov_b32 s38, s34
	v_add_f64 v[90:91], v[90:91], v[100:101]
	v_fma_f64 v[100:101], s[0:1], v[6:7], v[96:97]
	v_add_f64 v[92:93], v[92:93], v[98:99]
	v_fma_f64 v[96:97], v[6:7], s[0:1], -v[96:97]
	v_mul_f64 v[98:99], v[74:75], s[38:39]
	s_mov_b32 s37, 0x3fea55e2
	s_mov_b32 s36, s26
	v_add_f64 v[94:95], v[94:95], v[102:103]
	v_add_f64 v[96:97], v[96:97], v[104:105]
	v_fma_f64 v[102:103], v[4:5], s[30:31], -v[98:99]
	v_mul_f64 v[104:105], v[72:73], s[38:39]
	v_fmac_f64_e32 v[98:99], s[30:31], v[4:5]
	v_mul_f64 v[74:75], v[74:75], s[36:37]
	v_mul_f64 v[72:73], v[72:73], s[36:37]
	v_add_f64 v[100:101], v[100:101], v[106:107]
	v_add_f64 v[102:103], v[102:103], v[110:111]
	v_fma_f64 v[106:107], s[30:31], v[6:7], v[104:105]
	v_add_f64 v[98:99], v[98:99], v[108:109]
	v_fma_f64 v[104:105], v[6:7], s[30:31], -v[104:105]
	v_fma_f64 v[108:109], v[4:5], s[12:13], -v[74:75]
	v_fma_f64 v[110:111], s[12:13], v[6:7], v[72:73]
	v_fmac_f64_e32 v[74:75], s[12:13], v[4:5]
	v_fma_f64 v[4:5], v[6:7], s[12:13], -v[72:73]
	v_add_f64 v[6:7], v[66:67], v[70:71]
	v_add_f64 v[66:67], v[66:67], -v[70:71]
	v_add_f64 v[2:3], v[4:5], v[2:3]
	v_add_f64 v[4:5], v[64:65], v[68:69]
	v_add_f64 v[64:65], v[64:65], -v[68:69]
	v_mul_f64 v[68:69], v[66:67], s[24:25]
	v_fma_f64 v[70:71], v[4:5], s[22:23], -v[68:69]
	v_add_f64 v[10:11], v[70:71], v[10:11]
	v_mul_f64 v[70:71], v[64:65], s[24:25]
	v_fmac_f64_e32 v[68:69], s[22:23], v[4:5]
	v_fma_f64 v[72:73], s[22:23], v[6:7], v[70:71]
	v_add_f64 v[8:9], v[68:69], v[8:9]
	v_fma_f64 v[68:69], v[6:7], s[22:23], -v[70:71]
	v_add_f64 v[14:15], v[72:73], v[14:15]
	v_add_f64 v[12:13], v[68:69], v[12:13]
	v_mul_f64 v[68:69], v[66:67], s[28:29]
	v_mul_f64 v[72:73], v[64:65], s[28:29]
	v_add_f64 v[0:1], v[74:75], v[0:1]
	v_fma_f64 v[70:71], v[4:5], s[0:1], -v[68:69]
	v_fma_f64 v[74:75], s[0:1], v[6:7], v[72:73]
	v_fmac_f64_e32 v[68:69], s[0:1], v[4:5]
	v_fma_f64 v[72:73], v[6:7], s[0:1], -v[72:73]
	v_add_f64 v[68:69], v[68:69], v[76:77]
	v_add_f64 v[72:73], v[72:73], v[80:81]
	v_mul_f64 v[76:77], v[66:67], s[26:27]
	v_mul_f64 v[80:81], v[64:65], s[26:27]
	v_add_f64 v[70:71], v[70:71], v[78:79]
	v_add_f64 v[74:75], v[74:75], v[82:83]
	v_fma_f64 v[78:79], v[4:5], s[12:13], -v[76:77]
	v_fma_f64 v[82:83], s[12:13], v[6:7], v[80:81]
	v_fmac_f64_e32 v[76:77], s[12:13], v[4:5]
	v_fma_f64 v[80:81], v[6:7], s[12:13], -v[80:81]
	v_add_f64 v[76:77], v[76:77], v[84:85]
	v_add_f64 v[80:81], v[80:81], v[88:89]
	v_mul_f64 v[84:85], v[66:67], s[38:39]
	v_mul_f64 v[88:89], v[64:65], s[38:39]
	v_add_f64 v[122:123], v[122:123], v[130:131]
	v_add_f64 v[78:79], v[78:79], v[86:87]
	;; [unrolled: 1-line block ×3, first 2 shown]
	v_fma_f64 v[86:87], v[4:5], s[30:31], -v[84:85]
	v_fma_f64 v[90:91], s[30:31], v[6:7], v[88:89]
	v_fmac_f64_e32 v[84:85], s[30:31], v[4:5]
	v_fma_f64 v[88:89], v[6:7], s[30:31], -v[88:89]
	v_add_f64 v[120:121], v[120:121], v[128:129]
	v_add_f64 v[114:115], v[114:115], v[122:123]
	;; [unrolled: 1-line block ×4, first 2 shown]
	v_mul_f64 v[92:93], v[66:67], s[16:17]
	v_mul_f64 v[96:97], v[64:65], s[16:17]
	v_add_f64 v[112:113], v[112:113], v[120:121]
	v_add_f64 v[106:107], v[106:107], v[114:115]
	;; [unrolled: 1-line block ×4, first 2 shown]
	v_fma_f64 v[94:95], v[4:5], s[14:15], -v[92:93]
	v_fma_f64 v[100:101], s[14:15], v[6:7], v[96:97]
	v_fmac_f64_e32 v[92:93], s[14:15], v[4:5]
	v_mul_f64 v[66:67], v[66:67], s[20:21]
	v_mul_f64 v[64:65], v[64:65], s[20:21]
	v_add_f64 v[104:105], v[104:105], v[112:113]
	v_add_f64 v[100:101], v[100:101], v[106:107]
	;; [unrolled: 1-line block ×3, first 2 shown]
	v_fma_f64 v[96:97], v[6:7], s[14:15], -v[96:97]
	v_fma_f64 v[98:99], v[4:5], s[18:19], -v[66:67]
	v_fmac_f64_e32 v[66:67], s[18:19], v[4:5]
	v_fma_f64 v[4:5], v[6:7], s[18:19], -v[64:65]
	v_add_f64 v[106:107], v[58:59], -v[62:63]
	v_add_f64 v[96:97], v[96:97], v[104:105]
	v_add_f64 v[2:3], v[4:5], v[2:3]
	;; [unrolled: 1-line block ×3, first 2 shown]
	v_add_f64 v[104:105], v[56:57], -v[60:61]
	v_mul_f64 v[60:61], v[106:107], s[34:35]
	v_fma_f64 v[56:57], v[4:5], s[30:31], -v[60:61]
	v_add_f64 v[94:95], v[94:95], v[102:103]
	v_fma_f64 v[102:103], s[18:19], v[6:7], v[64:65]
	v_add_f64 v[6:7], v[58:59], v[62:63]
	v_add_f64 v[56:57], v[56:57], v[10:11]
	v_mul_f64 v[10:11], v[104:105], s[34:35]
	v_fmac_f64_e32 v[60:61], s[30:31], v[4:5]
	v_add_f64 v[124:125], v[124:125], v[132:133]
	v_add_f64 v[132:133], v[60:61], v[8:9]
	v_fma_f64 v[8:9], v[6:7], s[30:31], -v[10:11]
	v_add_f64 v[126:127], v[126:127], v[134:135]
	v_add_f64 v[134:135], v[8:9], v[12:13]
	v_mul_f64 v[8:9], v[106:107], s[16:17]
	v_fma_f64 v[58:59], s[30:31], v[6:7], v[10:11]
	v_fma_f64 v[10:11], v[4:5], s[14:15], -v[8:9]
	v_add_f64 v[60:61], v[10:11], v[70:71]
	v_mul_f64 v[10:11], v[104:105], s[16:17]
	v_fmac_f64_e32 v[8:9], s[14:15], v[4:5]
	v_add_f64 v[64:65], v[8:9], v[68:69]
	v_fma_f64 v[8:9], v[6:7], s[14:15], -v[10:11]
	v_add_f64 v[0:1], v[66:67], v[0:1]
	v_add_f64 v[66:67], v[8:9], v[72:73]
	v_mul_f64 v[8:9], v[106:107], s[24:25]
	v_fma_f64 v[12:13], s[14:15], v[6:7], v[10:11]
	v_fma_f64 v[10:11], v[4:5], s[22:23], -v[8:9]
	v_add_f64 v[68:69], v[10:11], v[78:79]
	v_mul_f64 v[10:11], v[104:105], s[24:25]
	v_fmac_f64_e32 v[8:9], s[22:23], v[4:5]
	;; [unrolled: 10-line block ×4, first 2 shown]
	v_add_f64 v[116:117], v[116:117], v[124:125]
	v_add_f64 v[88:89], v[8:9], v[92:93]
	v_fma_f64 v[8:9], v[6:7], s[18:19], -v[10:11]
	v_add_f64 v[108:109], v[108:109], v[116:117]
	v_add_f64 v[78:79], v[12:13], v[90:91]
	;; [unrolled: 1-line block ×3, first 2 shown]
	v_mul_f64 v[8:9], v[106:107], s[28:29]
	v_add_f64 v[98:99], v[98:99], v[108:109]
	v_fma_f64 v[12:13], s[18:19], v[6:7], v[10:11]
	v_fma_f64 v[10:11], v[4:5], s[0:1], -v[8:9]
	v_add_f64 v[92:93], v[10:11], v[98:99]
	v_mul_f64 v[10:11], v[104:105], s[28:29]
	v_fmac_f64_e32 v[8:9], s[0:1], v[4:5]
	v_add_f64 v[118:119], v[118:119], v[126:127]
	v_add_f64 v[96:97], v[8:9], v[0:1]
	v_fma_f64 v[0:1], v[6:7], s[0:1], -v[10:11]
	v_add_f64 v[110:111], v[110:111], v[118:119]
	v_add_f64 v[98:99], v[0:1], v[2:3]
	v_mul_lo_u16_e32 v0, 13, v242
	v_add_f64 v[102:103], v[102:103], v[110:111]
	v_add_f64 v[86:87], v[12:13], v[100:101]
	v_fma_f64 v[12:13], s[0:1], v[6:7], v[10:11]
	v_lshlrev_b32_e32 v224, 4, v0
	v_add_f64 v[58:59], v[58:59], v[14:15]
	v_add_f64 v[94:95], v[12:13], v[102:103]
	s_barrier
	ds_write_b128 v224, v[52:55]
	ds_write_b128 v224, v[56:59] offset:16
	ds_write_b128 v224, v[60:63] offset:32
	;; [unrolled: 1-line block ×12, first 2 shown]
	s_waitcnt lgkmcnt(0)
	s_barrier
	ds_read_b128 v[104:107], v240
	ds_read_b128 v[100:103], v240 offset:1872
	ds_read_b128 v[136:139], v240 offset:8112
	;; [unrolled: 1-line block ×11, first 2 shown]
	v_accvgpr_write_b32 a24, v34
	v_accvgpr_write_b32 a12, v20
	;; [unrolled: 1-line block ×24, first 2 shown]
	v_cmp_gt_u16_e32 vcc, 39, v242
                                        ; implicit-def: $vgpr144_vgpr145
                                        ; implicit-def: $vgpr148_vgpr149
	s_and_saveexec_b64 s[0:1], vcc
	s_cbranch_execz .LBB0_3
; %bb.2:
	ds_read_b128 v[132:135], v240 offset:7488
	ds_read_b128 v[144:147], v240 offset:15600
	;; [unrolled: 1-line block ×3, first 2 shown]
.LBB0_3:
	s_or_b64 exec, exec, s[0:1]
	s_mov_b64 s[0:1], 0xea
	v_lshl_add_u64 v[194:195], v[242:243], 0, s[0:1]
	s_mov_b64 s[0:1], 0x15f
	v_lshl_add_u64 v[192:193], v[242:243], 0, s[0:1]
	s_movk_i32 s0, 0x4f
	v_mul_lo_u16_sdwa v0, v242, s0 dst_sel:DWORD dst_unused:UNUSED_PAD src0_sel:BYTE_0 src1_sel:DWORD
	v_lshrrev_b16_e32 v16, 10, v0
	v_mul_lo_u16_e32 v0, 13, v16
	v_sub_u16_e32 v0, v242, v0
	v_and_b32_e32 v17, 0xff, v0
	v_lshlrev_b32_e32 v0, 5, v17
	v_add_u16_e32 v193, 0x75, v242
	global_load_dwordx4 v[52:55], v0, s[10:11] offset:16
	global_load_dwordx4 v[56:59], v0, s[10:11]
	v_mul_lo_u16_sdwa v0, v193, s0 dst_sel:DWORD dst_unused:UNUSED_PAD src0_sel:BYTE_0 src1_sel:DWORD
	v_lshrrev_b16_e32 v18, 10, v0
	v_mul_lo_u16_e32 v0, 13, v18
	v_sub_u16_e32 v0, v193, v0
	v_and_b32_e32 v19, 0xff, v0
	v_lshlrev_b32_e32 v0, 5, v19
	v_add_u16_e32 v196, 0x1d4, v242
	global_load_dwordx4 v[60:63], v0, s[10:11] offset:16
	global_load_dwordx4 v[64:67], v0, s[10:11]
	v_mul_u32_u24_e32 v0, 0x4ec5, v196
	v_lshrrev_b32_e32 v0, 18, v0
	v_accvgpr_write_b32 a44, v0
	v_mul_lo_u16_e32 v0, 13, v0
	v_sub_u16_e32 v0, v196, v0
	v_accvgpr_write_b32 a45, v0
	v_lshlrev_b16_e32 v0, 1, v0
	v_lshlrev_b32_e32 v0, 4, v0
	s_movk_i32 s0, 0x4ec5
	global_load_dwordx4 v[68:71], v0, s[10:11] offset:16
	global_load_dwordx4 v[72:75], v0, s[10:11]
	v_mul_u32_u24_sdwa v0, v194, s0 dst_sel:DWORD dst_unused:UNUSED_PAD src0_sel:WORD_0 src1_sel:DWORD
	v_lshrrev_b32_e32 v20, 18, v0
	v_mul_lo_u16_e32 v0, 13, v20
	v_sub_u16_e32 v21, v194, v0
	v_lshlrev_b16_e32 v0, 1, v21
	v_lshlrev_b32_e32 v0, 4, v0
	global_load_dwordx4 v[88:91], v0, s[10:11] offset:16
	global_load_dwordx4 v[96:99], v0, s[10:11]
	v_mul_u32_u24_sdwa v0, v192, s0 dst_sel:DWORD dst_unused:UNUSED_PAD src0_sel:WORD_0 src1_sel:DWORD
	v_lshrrev_b32_e32 v22, 18, v0
	v_mul_lo_u16_e32 v0, 13, v22
	v_sub_u16_e32 v23, v192, v0
	v_lshlrev_b16_e32 v0, 1, v23
	v_lshlrev_b32_e32 v0, 4, v0
	global_load_dwordx4 v[92:95], v0, s[10:11]
	global_load_dwordx4 v[84:87], v0, s[10:11] offset:16
	s_mov_b32 s0, 0xe8584caa
	s_mov_b32 s1, 0x3febb67a
	;; [unrolled: 1-line block ×4, first 2 shown]
	s_waitcnt lgkmcnt(0)
	s_barrier
	s_waitcnt vmcnt(9)
	v_mul_f64 v[4:5], v[142:143], v[54:55]
	s_waitcnt vmcnt(8)
	v_mul_f64 v[0:1], v[138:139], v[58:59]
	v_mul_f64 v[2:3], v[136:137], v[58:59]
	;; [unrolled: 1-line block ×3, first 2 shown]
	v_fma_f64 v[0:1], v[136:137], v[56:57], -v[0:1]
	v_fmac_f64_e32 v[2:3], v[138:139], v[56:57]
	v_fma_f64 v[4:5], v[140:141], v[52:53], -v[4:5]
	v_fmac_f64_e32 v[6:7], v[142:143], v[52:53]
	s_waitcnt vmcnt(7)
	v_mul_f64 v[12:13], v[130:131], v[62:63]
	v_mul_f64 v[14:15], v[128:129], v[62:63]
	v_fma_f64 v[12:13], v[128:129], v[60:61], -v[12:13]
	s_waitcnt vmcnt(6)
	v_mul_f64 v[8:9], v[126:127], v[66:67]
	v_fma_f64 v[8:9], v[124:125], v[64:65], -v[8:9]
	v_mul_f64 v[10:11], v[124:125], v[66:67]
	v_fmac_f64_e32 v[10:11], v[126:127], v[64:65]
	v_fmac_f64_e32 v[14:15], v[130:131], v[60:61]
	s_waitcnt vmcnt(5)
	v_mul_f64 v[158:159], v[148:149], v[70:71]
	s_waitcnt vmcnt(4)
	v_mul_f64 v[154:155], v[144:145], v[74:75]
	v_mul_f64 v[152:153], v[146:147], v[74:75]
	v_fmac_f64_e32 v[154:155], v[146:147], v[72:73]
	v_mul_f64 v[156:157], v[150:151], v[70:71]
	v_fmac_f64_e32 v[158:159], v[150:151], v[68:69]
	v_fma_f64 v[152:153], v[144:145], v[72:73], -v[152:153]
	s_waitcnt vmcnt(3)
	v_mul_f64 v[126:127], v[122:123], v[90:91]
	s_waitcnt vmcnt(2)
	v_mul_f64 v[124:125], v[118:119], v[98:99]
	v_mul_f64 v[130:131], v[116:117], v[98:99]
	v_fma_f64 v[142:143], v[116:117], v[96:97], -v[124:125]
	v_mul_f64 v[136:137], v[120:121], v[90:91]
	v_fma_f64 v[144:145], v[120:121], v[88:89], -v[126:127]
	v_fmac_f64_e32 v[130:131], v[118:119], v[96:97]
	s_waitcnt vmcnt(1)
	v_mul_f64 v[138:139], v[108:109], v[94:95]
	v_mul_f64 v[128:129], v[110:111], v[94:95]
	v_fmac_f64_e32 v[138:139], v[110:111], v[92:93]
	v_add_f64 v[110:111], v[0:1], v[4:5]
	s_waitcnt vmcnt(0)
	v_mul_f64 v[140:141], v[114:115], v[86:87]
	v_fma_f64 v[146:147], v[108:109], v[92:93], -v[128:129]
	v_add_f64 v[108:109], v[104:105], v[0:1]
	v_fmac_f64_e32 v[104:105], -0.5, v[110:111]
	v_add_f64 v[110:111], v[2:3], -v[6:7]
	v_mul_f64 v[160:161], v[112:113], v[86:87]
	v_fma_f64 v[150:151], v[112:113], v[84:85], -v[140:141]
	v_fma_f64 v[112:113], s[0:1], v[110:111], v[104:105]
	v_fmac_f64_e32 v[104:105], s[12:13], v[110:111]
	v_add_f64 v[110:111], v[106:107], v[2:3]
	v_add_f64 v[2:3], v[2:3], v[6:7]
	v_fmac_f64_e32 v[106:107], -0.5, v[2:3]
	v_add_f64 v[0:1], v[0:1], -v[4:5]
	v_fmac_f64_e32 v[160:161], v[114:115], v[84:85]
	v_fma_f64 v[114:115], s[12:13], v[0:1], v[106:107]
	v_fmac_f64_e32 v[106:107], s[0:1], v[0:1]
	v_add_f64 v[0:1], v[100:101], v[8:9]
	v_add_f64 v[116:117], v[0:1], v[12:13]
	;; [unrolled: 1-line block ×3, first 2 shown]
	v_fmac_f64_e32 v[100:101], -0.5, v[0:1]
	v_add_f64 v[0:1], v[10:11], -v[14:15]
	v_fma_f64 v[120:121], s[0:1], v[0:1], v[100:101]
	v_fmac_f64_e32 v[100:101], s[12:13], v[0:1]
	v_add_f64 v[0:1], v[102:103], v[10:11]
	v_add_f64 v[118:119], v[0:1], v[14:15]
	;; [unrolled: 1-line block ×3, first 2 shown]
	v_fmac_f64_e32 v[102:103], -0.5, v[0:1]
	v_add_f64 v[0:1], v[8:9], -v[12:13]
	v_fmac_f64_e32 v[136:137], v[122:123], v[88:89]
	v_fma_f64 v[122:123], s[12:13], v[0:1], v[102:103]
	v_fmac_f64_e32 v[102:103], s[0:1], v[0:1]
	v_add_f64 v[0:1], v[80:81], v[142:143]
	v_add_f64 v[124:125], v[0:1], v[144:145]
	v_add_f64 v[0:1], v[142:143], v[144:145]
	v_fmac_f64_e32 v[80:81], -0.5, v[0:1]
	v_add_f64 v[0:1], v[130:131], -v[136:137]
	v_fma_f64 v[128:129], s[0:1], v[0:1], v[80:81]
	v_fmac_f64_e32 v[80:81], s[12:13], v[0:1]
	v_add_f64 v[0:1], v[82:83], v[130:131]
	v_add_f64 v[126:127], v[0:1], v[136:137]
	v_add_f64 v[0:1], v[130:131], v[136:137]
	v_fmac_f64_e32 v[82:83], -0.5, v[0:1]
	v_add_f64 v[0:1], v[142:143], -v[144:145]
	;; [unrolled: 7-line block ×4, first 2 shown]
	v_fma_f64 v[148:149], v[148:149], v[68:69], -v[156:157]
	v_fma_f64 v[146:147], s[12:13], v[0:1], v[78:79]
	v_fmac_f64_e32 v[78:79], s[0:1], v[0:1]
	v_add_f64 v[0:1], v[132:133], v[152:153]
	v_add_f64 v[136:137], v[0:1], v[148:149]
	;; [unrolled: 1-line block ×3, first 2 shown]
	v_fmac_f64_e32 v[132:133], -0.5, v[0:1]
	v_add_f64 v[0:1], v[154:155], -v[158:159]
	v_fma_f64 v[156:157], s[0:1], v[0:1], v[132:133]
	v_fmac_f64_e32 v[132:133], s[12:13], v[0:1]
	v_add_f64 v[0:1], v[134:135], v[154:155]
	v_add_f64 v[138:139], v[0:1], v[158:159]
	v_add_f64 v[0:1], v[154:155], v[158:159]
	v_fmac_f64_e32 v[134:135], -0.5, v[0:1]
	v_add_f64 v[0:1], v[152:153], -v[148:149]
	v_fma_f64 v[158:159], s[12:13], v[0:1], v[134:135]
	v_fmac_f64_e32 v[134:135], s[0:1], v[0:1]
	v_mul_u32_u24_e32 v0, 39, v16
	v_add_f64 v[108:109], v[108:109], v[4:5]
	v_add_f64 v[110:111], v[110:111], v[6:7]
	v_add_lshl_u32 v0, v0, v17, 4
	ds_write_b128 v0, v[108:111]
	ds_write_b128 v0, v[112:115] offset:208
	v_accvgpr_write_b32 a46, v0
	ds_write_b128 v0, v[104:107] offset:416
	v_mul_u32_u24_e32 v0, 39, v18
	v_add_lshl_u32 v0, v0, v19, 4
	ds_write_b128 v0, v[116:119]
	ds_write_b128 v0, v[120:123] offset:208
	v_accvgpr_write_b32 a47, v0
	ds_write_b128 v0, v[100:103] offset:416
	v_mad_legacy_u16 v0, v20, 39, v21
	v_lshlrev_b32_e32 v0, 4, v0
	ds_write_b128 v0, v[124:127]
	ds_write_b128 v0, v[128:131] offset:208
	v_accvgpr_write_b32 a48, v0
	ds_write_b128 v0, v[80:83] offset:416
	v_mad_legacy_u16 v0, v22, 39, v23
	v_lshlrev_b32_e32 v0, 4, v0
	v_accvgpr_write_b32 a49, v0
	ds_write_b128 v0, v[140:143]
	ds_write_b128 v0, v[144:147] offset:208
	ds_write_b128 v0, v[76:79] offset:416
	s_and_saveexec_b64 s[0:1], vcc
	s_cbranch_execz .LBB0_5
; %bb.4:
	v_accvgpr_read_b32 v0, a44
	v_accvgpr_read_b32 v1, a45
	v_mad_legacy_u16 v0, v0, 39, v1
	v_lshlrev_b32_e32 v0, 4, v0
	ds_write_b128 v0, v[136:139]
	ds_write_b128 v0, v[156:159] offset:208
	ds_write_b128 v0, v[132:135] offset:416
.LBB0_5:
	s_or_b64 exec, exec, s[0:1]
	s_waitcnt lgkmcnt(0)
	s_barrier
	ds_read_b128 v[152:155], v240
	ds_read_b128 v[148:151], v240 offset:1872
	ds_read_b128 v[168:171], v240 offset:8112
	;; [unrolled: 1-line block ×11, first 2 shown]
	s_and_saveexec_b64 s[0:1], vcc
	s_cbranch_execz .LBB0_7
; %bb.6:
	ds_read_b128 v[136:139], v240 offset:7488
	ds_read_b128 v[156:159], v240 offset:15600
	ds_read_b128 v[132:135], v240 offset:23712
.LBB0_7:
	s_or_b64 exec, exec, s[0:1]
	s_movk_i32 s0, 0xa5
	v_mul_lo_u16_sdwa v0, v242, s0 dst_sel:DWORD dst_unused:UNUSED_PAD src0_sel:BYTE_0 src1_sel:DWORD
	v_sub_u16_sdwa v1, v242, v0 dst_sel:DWORD dst_unused:UNUSED_PAD src0_sel:DWORD src1_sel:BYTE_1
	v_lshrrev_b16_e32 v1, 1, v1
	v_and_b32_e32 v1, 0x7f, v1
	v_add_u16_sdwa v0, v1, v0 dst_sel:DWORD dst_unused:UNUSED_PAD src0_sel:DWORD src1_sel:BYTE_1
	v_lshrrev_b16_e32 v0, 5, v0
	v_and_b32_e32 v16, 7, v0
	v_mul_lo_u16_e32 v0, 39, v16
	v_sub_u16_e32 v0, v242, v0
	v_and_b32_e32 v17, 0xff, v0
	v_lshlrev_b32_e32 v0, 5, v17
	v_mul_lo_u16_sdwa v2, v193, s0 dst_sel:DWORD dst_unused:UNUSED_PAD src0_sel:BYTE_0 src1_sel:DWORD
	global_load_dwordx4 v[100:103], v0, s[10:11] offset:432
	global_load_dwordx4 v[104:107], v0, s[10:11] offset:416
	v_sub_u16_sdwa v0, v193, v2 dst_sel:DWORD dst_unused:UNUSED_PAD src0_sel:DWORD src1_sel:BYTE_1
	v_lshrrev_b16_e32 v0, 1, v0
	s_mov_b32 s0, 0xa41b
	v_and_b32_e32 v3, 0x7f, v0
	v_mul_u32_u24_sdwa v0, v194, s0 dst_sel:DWORD dst_unused:UNUSED_PAD src0_sel:WORD_0 src1_sel:DWORD
	v_sub_u16_sdwa v1, v194, v0 dst_sel:DWORD dst_unused:UNUSED_PAD src0_sel:DWORD src1_sel:WORD_1
	v_lshrrev_b16_e32 v1, 1, v1
	v_add_u16_sdwa v0, v1, v0 dst_sel:DWORD dst_unused:UNUSED_PAD src0_sel:DWORD src1_sel:WORD_1
	v_lshrrev_b16_e32 v18, 5, v0
	v_mul_lo_u16_e32 v0, 39, v18
	v_sub_u16_e32 v19, v194, v0
	v_lshlrev_b16_e32 v194, 5, v19
	v_mov_b32_e32 v195, 0
	v_lshl_add_u64 v[0:1], s[10:11], 0, v[194:195]
	global_load_dwordx4 v[108:111], v[0:1], off offset:432
	global_load_dwordx4 v[112:115], v[0:1], off offset:416
	v_mul_u32_u24_sdwa v0, v192, s0 dst_sel:DWORD dst_unused:UNUSED_PAD src0_sel:WORD_0 src1_sel:DWORD
	v_sub_u16_sdwa v1, v192, v0 dst_sel:DWORD dst_unused:UNUSED_PAD src0_sel:DWORD src1_sel:WORD_1
	v_lshrrev_b16_e32 v1, 1, v1
	v_add_u16_sdwa v0, v1, v0 dst_sel:DWORD dst_unused:UNUSED_PAD src0_sel:DWORD src1_sel:WORD_1
	v_lshrrev_b16_e32 v20, 5, v0
	v_mul_lo_u16_e32 v0, 39, v20
	v_sub_u16_e32 v21, v192, v0
	v_lshlrev_b16_e32 v194, 5, v21
	v_lshl_add_u64 v[0:1], s[10:11], 0, v[194:195]
	global_load_dwordx4 v[116:119], v[0:1], off offset:432
	global_load_dwordx4 v[120:123], v[0:1], off offset:416
	v_add_u16_sdwa v0, v3, v2 dst_sel:DWORD dst_unused:UNUSED_PAD src0_sel:DWORD src1_sel:BYTE_1
	v_lshrrev_b16_e32 v0, 5, v0
	v_and_b32_e32 v22, 7, v0
	v_mul_lo_u16_e32 v0, 39, v22
	v_sub_u16_e32 v0, v193, v0
	v_and_b32_e32 v23, 0xff, v0
	v_lshlrev_b32_e32 v0, 5, v23
	global_load_dwordx4 v[128:131], v0, s[10:11] offset:416
	global_load_dwordx4 v[124:127], v0, s[10:11] offset:432
	v_mul_u32_u24_e32 v0, 0xa41b, v196
	v_sub_u16_sdwa v1, v196, v0 dst_sel:DWORD dst_unused:UNUSED_PAD src0_sel:DWORD src1_sel:WORD_1
	v_lshrrev_b16_e32 v1, 1, v1
	v_add_u16_sdwa v0, v1, v0 dst_sel:DWORD dst_unused:UNUSED_PAD src0_sel:DWORD src1_sel:WORD_1
	v_lshrrev_b16_e32 v0, 5, v0
	v_mul_lo_u16_e32 v0, 39, v0
	v_sub_u16_e32 v24, v196, v0
	v_lshlrev_b16_e32 v194, 5, v24
	v_lshl_add_u64 v[0:1], s[10:11], 0, v[194:195]
	global_load_dwordx4 v[80:83], v[0:1], off offset:416
	global_load_dwordx4 v[76:79], v[0:1], off offset:432
	s_mov_b32 s0, 0xe8584caa
	s_mov_b32 s1, 0x3febb67a
	;; [unrolled: 1-line block ×3, first 2 shown]
	s_waitcnt lgkmcnt(0)
	s_barrier
	s_waitcnt vmcnt(7)
	v_mul_f64 v[4:5], v[190:191], v[110:111]
	s_waitcnt vmcnt(6)
	v_mul_f64 v[0:1], v[186:187], v[114:115]
	v_mul_f64 v[2:3], v[184:185], v[114:115]
	v_fma_f64 v[0:1], v[184:185], v[112:113], -v[0:1]
	v_mul_f64 v[184:185], v[170:171], v[106:107]
	v_mul_f64 v[6:7], v[188:189], v[110:111]
	v_fmac_f64_e32 v[2:3], v[186:187], v[112:113]
	v_fma_f64 v[4:5], v[188:189], v[108:109], -v[4:5]
	v_mul_f64 v[186:187], v[168:169], v[106:107]
	v_mul_f64 v[188:189], v[174:175], v[102:103]
	v_fmac_f64_e32 v[6:7], v[190:191], v[108:109]
	s_waitcnt vmcnt(4)
	v_mul_f64 v[10:11], v[176:177], v[122:123]
	v_mul_f64 v[8:9], v[178:179], v[122:123]
	v_fmac_f64_e32 v[10:11], v[178:179], v[120:121]
	v_fma_f64 v[8:9], v[176:177], v[120:121], -v[8:9]
	v_fma_f64 v[176:177], v[168:169], v[104:105], -v[184:185]
	v_mul_f64 v[12:13], v[182:183], v[118:119]
	v_mul_f64 v[190:191], v[172:173], v[102:103]
	s_waitcnt vmcnt(3)
	v_mul_f64 v[192:193], v[162:163], v[130:131]
	v_mul_f64 v[196:197], v[160:161], v[130:131]
	v_fma_f64 v[178:179], v[160:161], v[128:129], -v[192:193]
	v_fmac_f64_e32 v[196:197], v[162:163], v[128:129]
	s_waitcnt vmcnt(2)
	v_mul_f64 v[198:199], v[166:167], v[126:127]
	v_fmac_f64_e32 v[186:187], v[170:171], v[104:105]
	v_fma_f64 v[170:171], v[172:173], v[100:101], -v[188:189]
	v_mul_f64 v[14:15], v[180:181], v[118:119]
	v_mul_f64 v[200:201], v[164:165], v[126:127]
	v_fma_f64 v[12:13], v[180:181], v[116:117], -v[12:13]
	s_waitcnt vmcnt(1)
	v_mul_f64 v[160:161], v[158:159], v[82:83]
	v_fma_f64 v[160:161], v[156:157], v[80:81], -v[160:161]
	v_mul_f64 v[162:163], v[156:157], v[82:83]
	s_waitcnt vmcnt(0)
	v_mul_f64 v[156:157], v[134:135], v[78:79]
	v_fma_f64 v[156:157], v[132:133], v[76:77], -v[156:157]
	v_mul_f64 v[132:133], v[132:133], v[78:79]
	v_fmac_f64_e32 v[132:133], v[134:135], v[76:77]
	v_add_f64 v[134:135], v[152:153], v[176:177]
	v_fmac_f64_e32 v[190:191], v[174:175], v[100:101]
	v_fma_f64 v[180:181], v[164:165], v[124:125], -v[198:199]
	v_add_f64 v[164:165], v[134:135], v[170:171]
	v_add_f64 v[134:135], v[176:177], v[170:171]
	v_fmac_f64_e32 v[152:153], -0.5, v[134:135]
	v_add_f64 v[134:135], v[186:187], -v[190:191]
	v_fma_f64 v[168:169], s[0:1], v[134:135], v[152:153]
	v_fmac_f64_e32 v[152:153], s[12:13], v[134:135]
	v_add_f64 v[134:135], v[154:155], v[186:187]
	v_fmac_f64_e32 v[200:201], v[166:167], v[124:125]
	v_add_f64 v[166:167], v[134:135], v[190:191]
	v_add_f64 v[134:135], v[186:187], v[190:191]
	v_fmac_f64_e32 v[154:155], -0.5, v[134:135]
	v_add_f64 v[134:135], v[176:177], -v[170:171]
	v_fma_f64 v[170:171], s[12:13], v[134:135], v[154:155]
	v_fmac_f64_e32 v[154:155], s[0:1], v[134:135]
	v_add_f64 v[134:135], v[148:149], v[178:179]
	v_add_f64 v[172:173], v[134:135], v[180:181]
	v_add_f64 v[134:135], v[178:179], v[180:181]
	v_fmac_f64_e32 v[148:149], -0.5, v[134:135]
	v_add_f64 v[134:135], v[196:197], -v[200:201]
	v_fma_f64 v[176:177], s[0:1], v[134:135], v[148:149]
	v_fmac_f64_e32 v[148:149], s[12:13], v[134:135]
	v_add_f64 v[134:135], v[150:151], v[196:197]
	;; [unrolled: 7-line block ×4, first 2 shown]
	v_add_f64 v[2:3], v[2:3], v[6:7]
	v_fmac_f64_e32 v[146:147], -0.5, v[2:3]
	v_add_f64 v[0:1], v[0:1], -v[4:5]
	v_fma_f64 v[198:199], s[12:13], v[0:1], v[146:147]
	v_fmac_f64_e32 v[146:147], s[0:1], v[0:1]
	v_add_f64 v[0:1], v[140:141], v[8:9]
	v_fmac_f64_e32 v[14:15], v[182:183], v[116:117]
	v_add_f64 v[200:201], v[0:1], v[12:13]
	v_add_f64 v[0:1], v[8:9], v[12:13]
	v_fmac_f64_e32 v[140:141], -0.5, v[0:1]
	v_add_f64 v[0:1], v[10:11], -v[14:15]
	v_fma_f64 v[204:205], s[0:1], v[0:1], v[140:141]
	v_fmac_f64_e32 v[140:141], s[12:13], v[0:1]
	v_add_f64 v[0:1], v[142:143], v[10:11]
	v_add_f64 v[202:203], v[0:1], v[14:15]
	;; [unrolled: 1-line block ×3, first 2 shown]
	v_fmac_f64_e32 v[142:143], -0.5, v[0:1]
	v_add_f64 v[0:1], v[8:9], -v[12:13]
	v_fmac_f64_e32 v[162:163], v[158:159], v[80:81]
	v_fma_f64 v[206:207], s[12:13], v[0:1], v[142:143]
	v_fmac_f64_e32 v[142:143], s[0:1], v[0:1]
	v_add_f64 v[0:1], v[160:161], v[156:157]
	v_fma_f64 v[184:185], -0.5, v[0:1], v[136:137]
	v_add_f64 v[0:1], v[162:163], -v[132:133]
	v_fma_f64 v[180:181], s[0:1], v[0:1], v[184:185]
	v_fmac_f64_e32 v[184:185], s[12:13], v[0:1]
	v_add_f64 v[0:1], v[162:163], v[132:133]
	v_fma_f64 v[186:187], -0.5, v[0:1], v[138:139]
	v_add_f64 v[0:1], v[160:161], -v[156:157]
	v_fma_f64 v[182:183], s[12:13], v[0:1], v[186:187]
	v_fmac_f64_e32 v[186:187], s[0:1], v[0:1]
	s_movk_i32 s0, 0x75
	v_mul_u32_u24_sdwa v0, v16, s0 dst_sel:DWORD dst_unused:UNUSED_PAD src0_sel:WORD_0 src1_sel:DWORD
	v_add_lshl_u32 v0, v0, v17, 4
	ds_write_b128 v0, v[164:167]
	ds_write_b128 v0, v[168:171] offset:624
	v_accvgpr_write_b32 a51, v0
	ds_write_b128 v0, v[152:155] offset:1248
	v_mul_u32_u24_sdwa v0, v22, s0 dst_sel:DWORD dst_unused:UNUSED_PAD src0_sel:WORD_0 src1_sel:DWORD
	v_add_lshl_u32 v245, v0, v23, 4
	v_mad_legacy_u16 v0, v18, s0, v19
	v_add_f64 v[190:191], v[134:135], v[6:7]
	v_lshlrev_b32_e32 v0, 4, v0
	ds_write_b128 v245, v[172:175]
	ds_write_b128 v245, v[176:179] offset:624
	ds_write_b128 v245, v[148:151] offset:1248
	ds_write_b128 v0, v[188:191]
	ds_write_b128 v0, v[196:199] offset:624
	v_accvgpr_write_b32 a52, v0
	ds_write_b128 v0, v[144:147] offset:1248
	v_mad_legacy_u16 v0, v20, s0, v21
	v_lshlrev_b32_e32 v243, 4, v0
	v_lshlrev_b32_e32 v0, 4, v24
	v_accvgpr_write_b32 a50, v0
	ds_write_b128 v243, v[200:203]
	ds_write_b128 v243, v[204:207] offset:624
	ds_write_b128 v243, v[140:143] offset:1248
	s_and_saveexec_b64 s[0:1], vcc
	s_cbranch_execz .LBB0_9
; %bb.8:
	v_add_f64 v[0:1], v[138:139], v[162:163]
	v_add_f64 v[134:135], v[0:1], v[132:133]
	;; [unrolled: 1-line block ×4, first 2 shown]
	v_accvgpr_read_b32 v0, a50
	ds_write_b128 v0, v[132:135] offset:22464
	ds_write_b128 v0, v[180:183] offset:23088
	ds_write_b128 v0, v[184:187] offset:23712
.LBB0_9:
	s_or_b64 exec, exec, s[0:1]
	s_movk_i32 s0, 0xc0
	v_mov_b64_e32 v[0:1], s[10:11]
	v_mad_u64_u32 v[0:1], s[0:1], v242, s0, v[0:1]
	s_waitcnt lgkmcnt(0)
	s_barrier
	global_load_dwordx4 v[144:147], v[0:1], off offset:1664
	global_load_dwordx4 v[140:143], v[0:1], off offset:1680
	;; [unrolled: 1-line block ×12, first 2 shown]
	ds_read_b128 v[226:229], v240
	ds_read_b128 v[188:191], v240 offset:1872
	ds_read_b128 v[196:199], v240 offset:3744
	;; [unrolled: 1-line block ×12, first 2 shown]
	v_mov_b32_e32 v241, v195
	v_lshl_add_u64 v[212:213], s[8:9], 0, v[240:241]
	s_mov_b32 s18, 0x4267c47c
	s_mov_b32 s12, 0x42a4c3d2
	;; [unrolled: 1-line block ×33, first 2 shown]
	s_movk_i32 s0, 0x5000
	s_waitcnt vmcnt(11) lgkmcnt(11)
	v_mul_f64 v[222:223], v[190:191], v[146:147]
	v_mul_f64 v[238:239], v[188:189], v[146:147]
	s_waitcnt vmcnt(10) lgkmcnt(10)
	v_mul_f64 v[254:255], v[198:199], v[142:143]
	v_mul_f64 v[16:17], v[196:197], v[142:143]
	v_fma_f64 v[42:43], v[188:189], v[144:145], -v[222:223]
	v_fmac_f64_e32 v[238:239], v[190:191], v[144:145]
	s_waitcnt vmcnt(9) lgkmcnt(9)
	v_mul_f64 v[18:19], v[206:207], v[138:139]
	v_mul_f64 v[218:219], v[204:205], v[138:139]
	s_waitcnt vmcnt(3) lgkmcnt(3)
	v_mul_f64 v[210:211], v[0:1], v[178:179]
	s_waitcnt vmcnt(2) lgkmcnt(2)
	;; [unrolled: 2-line block ×3, first 2 shown]
	v_mul_f64 v[34:35], v[10:11], v[170:171]
	v_mul_f64 v[30:31], v[2:3], v[178:179]
	;; [unrolled: 1-line block ×4, first 2 shown]
	v_fma_f64 v[254:255], v[196:197], v[140:141], -v[254:255]
	v_fmac_f64_e32 v[16:17], v[198:199], v[140:141]
	v_fmac_f64_e32 v[210:211], v[2:3], v[176:177]
	;; [unrolled: 1-line block ×3, first 2 shown]
	v_fma_f64 v[2:3], v[8:9], v[168:169], -v[34:35]
	v_add_f64 v[6:7], v[226:227], v[42:43]
	v_add_f64 v[8:9], v[228:229], v[238:239]
	v_mul_f64 v[20:21], v[216:217], v[134:135]
	v_mul_f64 v[208:209], v[214:215], v[134:135]
	v_fma_f64 v[222:223], v[204:205], v[136:137], -v[18:19]
	v_fmac_f64_e32 v[218:219], v[206:207], v[136:137]
	v_add_f64 v[6:7], v[6:7], v[254:255]
	v_add_f64 v[8:9], v[8:9], v[16:17]
	v_mul_f64 v[22:23], v[232:233], v[162:163]
	v_mul_f64 v[200:201], v[230:231], v[162:163]
	v_fma_f64 v[214:215], v[214:215], v[132:133], -v[20:21]
	v_fmac_f64_e32 v[208:209], v[216:217], v[132:133]
	;; [unrolled: 6-line block ×5, first 2 shown]
	v_add_f64 v[6:7], v[6:7], v[196:197]
	v_add_f64 v[8:9], v[8:9], v[192:193]
	v_fma_f64 v[206:207], v[250:251], v[148:149], -v[28:29]
	v_fmac_f64_e32 v[202:203], v[252:253], v[148:149]
	v_add_f64 v[6:7], v[6:7], v[198:199]
	v_add_f64 v[8:9], v[8:9], v[194:195]
	v_fma_f64 v[216:217], v[0:1], v[176:177], -v[30:31]
	v_add_f64 v[6:7], v[6:7], v[206:207]
	v_add_f64 v[8:9], v[8:9], v[202:203]
	s_waitcnt vmcnt(0) lgkmcnt(0)
	v_mul_f64 v[40:41], v[12:13], v[166:167]
	v_fma_f64 v[0:1], v[4:5], v[172:173], -v[32:33]
	v_add_f64 v[6:7], v[6:7], v[216:217]
	v_add_f64 v[8:9], v[8:9], v[210:211]
	v_mul_f64 v[38:39], v[14:15], v[166:167]
	v_fmac_f64_e32 v[36:37], v[10:11], v[168:169]
	v_fmac_f64_e32 v[40:41], v[14:15], v[164:165]
	v_add_f64 v[6:7], v[6:7], v[0:1]
	v_add_f64 v[8:9], v[8:9], v[220:221]
	v_fma_f64 v[4:5], v[12:13], v[164:165], -v[38:39]
	v_add_f64 v[6:7], v[6:7], v[2:3]
	v_add_f64 v[8:9], v[8:9], v[36:37]
	v_add_f64 v[10:11], v[238:239], -v[40:41]
	v_add_f64 v[188:189], v[6:7], v[4:5]
	v_add_f64 v[190:191], v[8:9], v[40:41]
	;; [unrolled: 1-line block ×4, first 2 shown]
	v_mul_f64 v[12:13], v[10:11], s[18:19]
	v_mul_f64 v[22:23], v[10:11], s[12:13]
	;; [unrolled: 1-line block ×6, first 2 shown]
	v_add_f64 v[4:5], v[42:43], -v[4:5]
	v_fma_f64 v[248:249], v[6:7], s[34:35], -v[10:11]
	v_fmac_f64_e32 v[10:11], s[34:35], v[6:7]
	v_fma_f64 v[14:15], v[6:7], s[20:21], -v[12:13]
	v_mul_f64 v[18:19], v[4:5], s[18:19]
	v_fmac_f64_e32 v[12:13], s[20:21], v[6:7]
	v_fma_f64 v[24:25], v[6:7], s[14:15], -v[22:23]
	v_mul_f64 v[26:27], v[4:5], s[12:13]
	;; [unrolled: 3-line block ×5, first 2 shown]
	v_fmac_f64_e32 v[234:235], s[26:27], v[6:7]
	v_mul_f64 v[4:5], v[4:5], s[30:31]
	v_add_f64 v[6:7], v[226:227], v[10:11]
	v_add_f64 v[10:11], v[16:17], v[36:37]
	v_add_f64 v[16:17], v[16:17], -v[36:37]
	v_fma_f64 v[20:21], s[20:21], v[8:9], v[18:19]
	v_fma_f64 v[18:19], v[8:9], s[20:21], -v[18:19]
	v_fma_f64 v[28:29], s[14:15], v[8:9], v[26:27]
	v_fma_f64 v[26:27], v[8:9], s[14:15], -v[26:27]
	;; [unrolled: 2-line block ×6, first 2 shown]
	v_add_f64 v[8:9], v[254:255], v[2:3]
	v_mul_f64 v[36:37], v[16:17], s[12:13]
	v_add_f64 v[14:15], v[226:227], v[14:15]
	v_add_f64 v[12:13], v[226:227], v[12:13]
	v_add_f64 v[24:25], v[226:227], v[24:25]
	v_add_f64 v[22:23], v[226:227], v[22:23]
	v_add_f64 v[32:33], v[226:227], v[32:33]
	v_add_f64 v[30:31], v[226:227], v[30:31]
	v_add_f64 v[42:43], v[226:227], v[42:43]
	v_add_f64 v[40:41], v[226:227], v[40:41]
	v_add_f64 v[236:237], v[226:227], v[236:237]
	v_add_f64 v[234:235], v[226:227], v[234:235]
	v_add_f64 v[248:249], v[226:227], v[248:249]
	v_add_f64 v[2:3], v[254:255], -v[2:3]
	v_fma_f64 v[226:227], v[8:9], s[14:15], -v[36:37]
	v_add_f64 v[14:15], v[226:227], v[14:15]
	v_mul_f64 v[226:227], v[2:3], s[12:13]
	v_fmac_f64_e32 v[36:37], s[14:15], v[8:9]
	v_add_f64 v[18:19], v[228:229], v[18:19]
	v_add_f64 v[12:13], v[36:37], v[12:13]
	v_fma_f64 v[36:37], v[10:11], s[14:15], -v[226:227]
	v_add_f64 v[18:19], v[36:37], v[18:19]
	v_mul_f64 v[36:37], v[16:17], s[16:17]
	v_add_f64 v[20:21], v[228:229], v[20:21]
	v_add_f64 v[28:29], v[228:229], v[28:29]
	;; [unrolled: 1-line block ×11, first 2 shown]
	v_fma_f64 v[228:229], s[14:15], v[10:11], v[226:227]
	v_fma_f64 v[226:227], v[8:9], s[22:23], -v[36:37]
	v_add_f64 v[24:25], v[226:227], v[24:25]
	v_mul_f64 v[226:227], v[2:3], s[16:17]
	v_fmac_f64_e32 v[36:37], s[22:23], v[8:9]
	v_add_f64 v[22:23], v[36:37], v[22:23]
	v_fma_f64 v[36:37], v[10:11], s[22:23], -v[226:227]
	v_add_f64 v[26:27], v[36:37], v[26:27]
	v_mul_f64 v[36:37], v[16:17], s[30:31]
	v_add_f64 v[20:21], v[228:229], v[20:21]
	v_fma_f64 v[228:229], s[22:23], v[10:11], v[226:227]
	v_fma_f64 v[226:227], v[8:9], s[34:35], -v[36:37]
	v_add_f64 v[32:33], v[226:227], v[32:33]
	v_mul_f64 v[226:227], v[2:3], s[30:31]
	v_fmac_f64_e32 v[36:37], s[34:35], v[8:9]
	v_add_f64 v[30:31], v[36:37], v[30:31]
	v_fma_f64 v[36:37], v[10:11], s[34:35], -v[226:227]
	v_add_f64 v[34:35], v[36:37], v[34:35]
	v_mul_f64 v[36:37], v[16:17], s[36:37]
	v_add_f64 v[28:29], v[228:229], v[28:29]
	v_fma_f64 v[228:229], s[34:35], v[10:11], v[226:227]
	v_fma_f64 v[226:227], v[8:9], s[26:27], -v[36:37]
	v_add_f64 v[42:43], v[226:227], v[42:43]
	v_mul_f64 v[226:227], v[2:3], s[36:37]
	v_fmac_f64_e32 v[36:37], s[26:27], v[8:9]
	v_add_f64 v[38:39], v[228:229], v[38:39]
	v_fma_f64 v[228:229], s[26:27], v[10:11], v[226:227]
	v_add_f64 v[36:37], v[36:37], v[40:41]
	v_fma_f64 v[40:41], v[10:11], s[26:27], -v[226:227]
	v_mul_f64 v[226:227], v[16:17], s[28:29]
	v_add_f64 v[228:229], v[228:229], v[232:233]
	v_add_f64 v[40:41], v[40:41], v[230:231]
	v_fma_f64 v[230:231], v[8:9], s[10:11], -v[226:227]
	v_mul_f64 v[232:233], v[2:3], s[28:29]
	v_add_f64 v[230:231], v[230:231], v[236:237]
	v_fma_f64 v[236:237], s[10:11], v[10:11], v[232:233]
	v_fmac_f64_e32 v[226:227], s[10:11], v[8:9]
	v_fma_f64 v[232:233], v[10:11], s[10:11], -v[232:233]
	v_mul_f64 v[16:17], v[16:17], s[40:41]
	v_mul_f64 v[2:3], v[2:3], s[40:41]
	v_add_f64 v[226:227], v[226:227], v[234:235]
	v_add_f64 v[232:233], v[232:233], v[238:239]
	v_fma_f64 v[234:235], v[8:9], s[20:21], -v[16:17]
	v_fma_f64 v[238:239], s[20:21], v[10:11], v[2:3]
	v_fmac_f64_e32 v[16:17], s[20:21], v[8:9]
	v_fma_f64 v[2:3], v[10:11], s[20:21], -v[2:3]
	v_add_f64 v[10:11], v[218:219], -v[220:221]
	v_add_f64 v[6:7], v[16:17], v[6:7]
	v_add_f64 v[2:3], v[2:3], v[4:5]
	;; [unrolled: 1-line block ×3, first 2 shown]
	v_mul_f64 v[16:17], v[10:11], s[8:9]
	v_add_f64 v[8:9], v[218:219], v[220:221]
	v_add_f64 v[0:1], v[222:223], -v[0:1]
	v_fma_f64 v[218:219], v[4:5], s[10:11], -v[16:17]
	v_add_f64 v[14:15], v[218:219], v[14:15]
	v_mul_f64 v[218:219], v[0:1], s[8:9]
	v_fmac_f64_e32 v[16:17], s[10:11], v[4:5]
	v_add_f64 v[12:13], v[16:17], v[12:13]
	v_fma_f64 v[16:17], v[8:9], s[10:11], -v[218:219]
	v_add_f64 v[16:17], v[16:17], v[18:19]
	v_mul_f64 v[18:19], v[10:11], s[30:31]
	v_fma_f64 v[220:221], s[10:11], v[8:9], v[218:219]
	v_fma_f64 v[218:219], v[4:5], s[34:35], -v[18:19]
	v_add_f64 v[24:25], v[218:219], v[24:25]
	v_mul_f64 v[218:219], v[0:1], s[30:31]
	v_fmac_f64_e32 v[18:19], s[34:35], v[4:5]
	v_add_f64 v[18:19], v[18:19], v[22:23]
	v_fma_f64 v[22:23], v[8:9], s[34:35], -v[218:219]
	v_add_f64 v[22:23], v[22:23], v[26:27]
	v_mul_f64 v[26:27], v[10:11], s[38:39]
	v_add_f64 v[20:21], v[220:221], v[20:21]
	v_fma_f64 v[220:221], s[34:35], v[8:9], v[218:219]
	v_fma_f64 v[218:219], v[4:5], s[22:23], -v[26:27]
	v_add_f64 v[32:33], v[218:219], v[32:33]
	v_mul_f64 v[218:219], v[0:1], s[38:39]
	v_fmac_f64_e32 v[26:27], s[22:23], v[4:5]
	v_add_f64 v[26:27], v[26:27], v[30:31]
	v_fma_f64 v[30:31], v[8:9], s[22:23], -v[218:219]
	v_add_f64 v[30:31], v[30:31], v[34:35]
	v_mul_f64 v[34:35], v[10:11], s[40:41]
	v_add_f64 v[28:29], v[220:221], v[28:29]
	;; [unrolled: 10-line block ×3, first 2 shown]
	v_fma_f64 v[220:221], s[20:21], v[8:9], v[218:219]
	v_fma_f64 v[218:219], v[4:5], s[14:15], -v[40:41]
	v_fmac_f64_e32 v[40:41], s[14:15], v[4:5]
	v_mul_f64 v[10:11], v[10:11], s[24:25]
	v_mul_f64 v[222:223], v[0:1], s[12:13]
	v_add_f64 v[40:41], v[40:41], v[226:227]
	v_fma_f64 v[226:227], v[4:5], s[26:27], -v[10:11]
	v_mul_f64 v[0:1], v[0:1], s[24:25]
	v_fmac_f64_e32 v[10:11], s[26:27], v[4:5]
	v_add_f64 v[218:219], v[218:219], v[230:231]
	v_fma_f64 v[230:231], s[26:27], v[8:9], v[0:1]
	v_add_f64 v[4:5], v[10:11], v[6:7]
	v_fma_f64 v[0:1], v[8:9], s[26:27], -v[0:1]
	v_add_f64 v[10:11], v[208:209], -v[210:211]
	v_add_f64 v[0:1], v[0:1], v[2:3]
	v_add_f64 v[2:3], v[214:215], v[216:217]
	;; [unrolled: 1-line block ×3, first 2 shown]
	v_mul_f64 v[208:209], v[10:11], s[16:17]
	v_add_f64 v[220:221], v[220:221], v[228:229]
	v_fma_f64 v[228:229], s[14:15], v[8:9], v[222:223]
	v_fma_f64 v[222:223], v[8:9], s[14:15], -v[222:223]
	v_add_f64 v[8:9], v[214:215], -v[216:217]
	v_fma_f64 v[210:211], v[2:3], s[22:23], -v[208:209]
	v_add_f64 v[14:15], v[210:211], v[14:15]
	v_mul_f64 v[210:211], v[8:9], s[16:17]
	v_fmac_f64_e32 v[208:209], s[22:23], v[2:3]
	v_add_f64 v[12:13], v[208:209], v[12:13]
	v_fma_f64 v[208:209], v[6:7], s[22:23], -v[210:211]
	v_add_f64 v[16:17], v[208:209], v[16:17]
	v_mul_f64 v[208:209], v[10:11], s[36:37]
	v_fma_f64 v[214:215], s[22:23], v[6:7], v[210:211]
	v_fma_f64 v[210:211], v[2:3], s[26:27], -v[208:209]
	v_add_f64 v[24:25], v[210:211], v[24:25]
	v_mul_f64 v[210:211], v[8:9], s[36:37]
	v_fmac_f64_e32 v[208:209], s[26:27], v[2:3]
	v_add_f64 v[18:19], v[208:209], v[18:19]
	v_fma_f64 v[208:209], v[6:7], s[26:27], -v[210:211]
	v_add_f64 v[22:23], v[208:209], v[22:23]
	v_mul_f64 v[208:209], v[10:11], s[40:41]
	v_add_f64 v[20:21], v[214:215], v[20:21]
	v_fma_f64 v[214:215], s[26:27], v[6:7], v[210:211]
	v_fma_f64 v[210:211], v[2:3], s[20:21], -v[208:209]
	v_add_f64 v[32:33], v[210:211], v[32:33]
	v_mul_f64 v[210:211], v[8:9], s[40:41]
	v_fmac_f64_e32 v[208:209], s[20:21], v[2:3]
	v_add_f64 v[26:27], v[208:209], v[26:27]
	v_fma_f64 v[208:209], v[6:7], s[20:21], -v[210:211]
	v_add_f64 v[30:31], v[208:209], v[30:31]
	v_mul_f64 v[208:209], v[10:11], s[8:9]
	v_add_f64 v[28:29], v[214:215], v[28:29]
	;; [unrolled: 10-line block ×3, first 2 shown]
	v_fma_f64 v[214:215], s[10:11], v[6:7], v[210:211]
	v_fma_f64 v[210:211], v[2:3], s[34:35], -v[208:209]
	v_mul_f64 v[216:217], v[8:9], s[44:45]
	v_fmac_f64_e32 v[208:209], s[34:35], v[2:3]
	v_mul_f64 v[10:11], v[10:11], s[42:43]
	v_add_f64 v[210:211], v[210:211], v[218:219]
	v_fma_f64 v[218:219], s[34:35], v[6:7], v[216:217]
	v_add_f64 v[40:41], v[208:209], v[40:41]
	v_fma_f64 v[208:209], v[6:7], s[34:35], -v[216:217]
	v_fma_f64 v[216:217], v[2:3], s[14:15], -v[10:11]
	v_mul_f64 v[8:9], v[8:9], s[42:43]
	v_fmac_f64_e32 v[10:11], s[14:15], v[2:3]
	v_add_f64 v[2:3], v[10:11], v[4:5]
	v_fma_f64 v[4:5], v[6:7], s[14:15], -v[8:9]
	v_add_f64 v[10:11], v[200:201], -v[202:203]
	v_add_f64 v[214:215], v[214:215], v[220:221]
	v_fma_f64 v[220:221], s[14:15], v[6:7], v[8:9]
	v_add_f64 v[0:1], v[4:5], v[0:1]
	v_add_f64 v[4:5], v[204:205], v[206:207]
	;; [unrolled: 1-line block ×3, first 2 shown]
	v_mul_f64 v[200:201], v[10:11], s[24:25]
	v_add_f64 v[8:9], v[204:205], -v[206:207]
	v_fma_f64 v[202:203], v[4:5], s[26:27], -v[200:201]
	v_add_f64 v[14:15], v[202:203], v[14:15]
	v_mul_f64 v[202:203], v[8:9], s[24:25]
	v_fmac_f64_e32 v[200:201], s[26:27], v[4:5]
	v_add_f64 v[12:13], v[200:201], v[12:13]
	v_fma_f64 v[200:201], v[6:7], s[26:27], -v[202:203]
	v_add_f64 v[16:17], v[200:201], v[16:17]
	v_mul_f64 v[200:201], v[10:11], s[28:29]
	v_fma_f64 v[204:205], s[26:27], v[6:7], v[202:203]
	v_fma_f64 v[202:203], v[4:5], s[10:11], -v[200:201]
	v_add_f64 v[24:25], v[202:203], v[24:25]
	v_mul_f64 v[202:203], v[8:9], s[28:29]
	v_fmac_f64_e32 v[200:201], s[10:11], v[4:5]
	v_add_f64 v[18:19], v[200:201], v[18:19]
	v_fma_f64 v[200:201], v[6:7], s[10:11], -v[202:203]
	v_add_f64 v[22:23], v[200:201], v[22:23]
	v_mul_f64 v[200:201], v[10:11], s[12:13]
	v_add_f64 v[20:21], v[204:205], v[20:21]
	v_fma_f64 v[204:205], s[10:11], v[6:7], v[202:203]
	v_fma_f64 v[202:203], v[4:5], s[14:15], -v[200:201]
	v_add_f64 v[32:33], v[202:203], v[32:33]
	v_mul_f64 v[202:203], v[8:9], s[12:13]
	v_fmac_f64_e32 v[200:201], s[14:15], v[4:5]
	v_add_f64 v[26:27], v[200:201], v[26:27]
	v_fma_f64 v[200:201], v[6:7], s[14:15], -v[202:203]
	v_add_f64 v[30:31], v[200:201], v[30:31]
	v_mul_f64 v[200:201], v[10:11], s[44:45]
	v_add_f64 v[28:29], v[204:205], v[28:29]
	;; [unrolled: 10-line block ×3, first 2 shown]
	v_add_f64 v[38:39], v[204:205], v[38:39]
	v_fma_f64 v[204:205], s[34:35], v[6:7], v[202:203]
	v_fma_f64 v[202:203], v[4:5], s[20:21], -v[200:201]
	v_add_f64 v[228:229], v[228:229], v[236:237]
	v_add_f64 v[222:223], v[222:223], v[232:233]
	;; [unrolled: 1-line block ×3, first 2 shown]
	v_mul_f64 v[202:203], v[8:9], s[40:41]
	v_fmac_f64_e32 v[200:201], s[20:21], v[4:5]
	v_add_f64 v[234:235], v[234:235], v[248:249]
	v_add_f64 v[238:239], v[238:239], v[250:251]
	;; [unrolled: 1-line block ×4, first 2 shown]
	v_fma_f64 v[206:207], s[20:21], v[6:7], v[202:203]
	v_add_f64 v[40:41], v[200:201], v[40:41]
	v_fma_f64 v[200:201], v[6:7], s[20:21], -v[202:203]
	v_mul_f64 v[10:11], v[10:11], s[16:17]
	v_add_f64 v[226:227], v[226:227], v[234:235]
	v_add_f64 v[230:231], v[230:231], v[238:239]
	;; [unrolled: 1-line block ×5, first 2 shown]
	v_fma_f64 v[200:201], v[4:5], s[22:23], -v[10:11]
	v_mul_f64 v[8:9], v[8:9], s[16:17]
	v_fmac_f64_e32 v[10:11], s[22:23], v[4:5]
	v_add_f64 v[236:237], v[192:193], -v[194:195]
	v_add_f64 v[216:217], v[216:217], v[226:227]
	v_add_f64 v[220:221], v[220:221], v[230:231]
	v_add_f64 v[226:227], v[10:11], v[2:3]
	v_fma_f64 v[2:3], v[6:7], s[22:23], -v[8:9]
	v_add_f64 v[230:231], v[196:197], v[198:199]
	v_add_f64 v[234:235], v[196:197], -v[198:199]
	v_mul_f64 v[4:5], v[236:237], s[30:31]
	v_add_f64 v[222:223], v[200:201], v[216:217]
	v_fma_f64 v[200:201], s[22:23], v[6:7], v[8:9]
	v_add_f64 v[228:229], v[2:3], v[0:1]
	v_add_f64 v[232:233], v[192:193], v[194:195]
	v_fma_f64 v[0:1], v[230:231], s[34:35], -v[4:5]
	v_mul_f64 v[6:7], v[234:235], s[30:31]
	v_fmac_f64_e32 v[4:5], s[34:35], v[230:231]
	v_fma_f64 v[2:3], s[34:35], v[232:233], v[6:7]
	v_add_f64 v[4:5], v[4:5], v[12:13]
	v_fma_f64 v[6:7], v[232:233], s[34:35], -v[6:7]
	v_mul_f64 v[12:13], v[236:237], s[40:41]
	v_add_f64 v[6:7], v[6:7], v[16:17]
	v_fma_f64 v[8:9], v[230:231], s[20:21], -v[12:13]
	v_fmac_f64_e32 v[12:13], s[20:21], v[230:231]
	v_mul_f64 v[16:17], v[236:237], s[24:25]
	v_add_f64 v[12:13], v[12:13], v[18:19]
	v_fma_f64 v[18:19], v[230:231], s[26:27], -v[16:17]
	v_add_f64 v[192:193], v[18:19], v[32:33]
	v_mul_f64 v[18:19], v[234:235], s[24:25]
	v_fmac_f64_e32 v[16:17], s[26:27], v[230:231]
	v_add_f64 v[196:197], v[16:17], v[26:27]
	v_fma_f64 v[16:17], v[232:233], s[26:27], -v[18:19]
	v_add_f64 v[198:199], v[16:17], v[30:31]
	v_mul_f64 v[16:17], v[236:237], s[42:43]
	v_add_f64 v[2:3], v[2:3], v[20:21]
	v_fma_f64 v[20:21], s[26:27], v[232:233], v[18:19]
	v_fma_f64 v[18:19], v[230:231], s[14:15], -v[16:17]
	v_add_f64 v[220:221], v[200:201], v[220:221]
	v_add_f64 v[200:201], v[18:19], v[42:43]
	v_mul_f64 v[18:19], v[234:235], s[42:43]
	v_add_f64 v[194:195], v[20:21], v[38:39]
	v_fma_f64 v[20:21], s[14:15], v[232:233], v[18:19]
	v_fmac_f64_e32 v[16:17], s[14:15], v[230:231]
	v_add_f64 v[202:203], v[20:21], v[204:205]
	v_add_f64 v[204:205], v[16:17], v[34:35]
	v_fma_f64 v[16:17], v[232:233], s[14:15], -v[18:19]
	v_add_f64 v[206:207], v[16:17], v[36:37]
	v_mul_f64 v[16:17], v[236:237], s[16:17]
	v_fma_f64 v[18:19], v[230:231], s[22:23], -v[16:17]
	v_add_f64 v[208:209], v[18:19], v[210:211]
	v_mul_f64 v[18:19], v[234:235], s[16:17]
	v_fma_f64 v[20:21], s[22:23], v[232:233], v[18:19]
	v_fmac_f64_e32 v[16:17], s[22:23], v[230:231]
	v_add_f64 v[210:211], v[20:21], v[214:215]
	v_add_f64 v[214:215], v[16:17], v[40:41]
	v_fma_f64 v[16:17], v[232:233], s[22:23], -v[18:19]
	v_add_f64 v[216:217], v[16:17], v[218:219]
	v_mul_f64 v[16:17], v[236:237], s[28:29]
	v_fma_f64 v[18:19], v[230:231], s[10:11], -v[16:17]
	v_add_f64 v[0:1], v[0:1], v[14:15]
	v_mul_f64 v[14:15], v[234:235], s[40:41]
	v_add_f64 v[218:219], v[18:19], v[222:223]
	v_mul_f64 v[18:19], v[234:235], s[28:29]
	v_fmac_f64_e32 v[16:17], s[10:11], v[230:231]
	v_fma_f64 v[10:11], s[20:21], v[232:233], v[14:15]
	v_fma_f64 v[14:15], v[232:233], s[20:21], -v[14:15]
	v_fma_f64 v[20:21], s[10:11], v[232:233], v[18:19]
	v_add_f64 v[226:227], v[16:17], v[226:227]
	v_fma_f64 v[16:17], v[232:233], s[10:11], -v[18:19]
	v_add_f64 v[8:9], v[8:9], v[24:25]
	v_add_f64 v[10:11], v[10:11], v[28:29]
	;; [unrolled: 1-line block ×5, first 2 shown]
	ds_write_b128 v240, v[188:191]
	ds_write_b128 v240, v[0:3] offset:1872
	ds_write_b128 v240, v[8:11] offset:3744
	ds_write_b128 v240, v[192:195] offset:5616
	ds_write_b128 v240, v[200:203] offset:7488
	ds_write_b128 v240, v[208:211] offset:9360
	ds_write_b128 v240, v[218:221] offset:11232
	ds_write_b128 v240, v[226:229] offset:13104
	ds_write_b128 v240, v[214:217] offset:14976
	ds_write_b128 v240, v[204:207] offset:16848
	ds_write_b128 v240, v[196:199] offset:18720
	ds_write_b128 v240, v[12:15] offset:20592
	ds_write_b128 v240, v[4:7] offset:22464
	v_add_co_u32_e64 v0, s[0:1], s0, v212
	s_waitcnt lgkmcnt(0)
	s_nop 0
	v_addc_co_u32_e64 v1, s[0:1], 0, v213, s[0:1]
	s_barrier
	global_load_dwordx4 v[188:191], v[0:1], off offset:3856
	s_mov_b64 s[0:1], 0x5f10
	v_lshl_add_u64 v[0:1], v[212:213], 0, s[0:1]
	global_load_dwordx4 v[192:195], v[0:1], off offset:1872
	global_load_dwordx4 v[196:199], v[0:1], off offset:3744
	s_movk_i32 s0, 0x7000
	v_add_co_u32_e64 v0, s[0:1], s0, v212
	s_nop 1
	v_addc_co_u32_e64 v1, s[0:1], 0, v213, s[0:1]
	global_load_dwordx4 v[200:203], v[0:1], off offset:1280
	global_load_dwordx4 v[204:207], v[0:1], off offset:3152
	s_mov_b32 s0, 0x8000
	v_add_co_u32_e64 v0, s[0:1], s0, v212
	s_nop 1
	v_addc_co_u32_e64 v1, s[0:1], 0, v213, s[0:1]
	global_load_dwordx4 v[208:211], v[0:1], off offset:928
	s_nop 0
	global_load_dwordx4 v[0:3], v[0:1], off offset:2800
	s_mov_b32 s0, 0x9000
	v_add_co_u32_e64 v8, s[0:1], s0, v212
	s_nop 1
	v_addc_co_u32_e64 v9, s[0:1], 0, v213, s[0:1]
	global_load_dwordx4 v[4:7], v[8:9], off offset:576
	s_nop 0
	global_load_dwordx4 v[8:11], v[8:9], off offset:2448
	s_mov_b32 s0, 0xa000
	v_add_co_u32_e64 v16, s[0:1], s0, v212
	s_nop 1
	v_addc_co_u32_e64 v17, s[0:1], 0, v213, s[0:1]
	global_load_dwordx4 v[12:15], v[16:17], off offset:224
	global_load_dwordx4 v[214:217], v[16:17], off offset:2096
	;; [unrolled: 1-line block ×3, first 2 shown]
	s_mov_b32 s0, 0xb000
	v_add_co_u32_e64 v16, s[0:1], s0, v212
	s_nop 1
	v_addc_co_u32_e64 v17, s[0:1], 0, v213, s[0:1]
	global_load_dwordx4 v[226:229], v[16:17], off offset:1744
	ds_read_b128 v[230:233], v240
	ds_read_b128 v[234:237], v240 offset:1872
	s_waitcnt vmcnt(12) lgkmcnt(1)
	v_mul_f64 v[16:17], v[232:233], v[190:191]
	v_mul_f64 v[248:249], v[230:231], v[190:191]
	v_fma_f64 v[246:247], v[230:231], v[188:189], -v[16:17]
	v_fmac_f64_e32 v[248:249], v[232:233], v[188:189]
	ds_read_b128 v[230:233], v240 offset:3744
	s_waitcnt vmcnt(11) lgkmcnt(1)
	v_mul_f64 v[16:17], v[236:237], v[194:195]
	v_mul_f64 v[190:191], v[234:235], v[194:195]
	v_fma_f64 v[188:189], v[234:235], v[192:193], -v[16:17]
	v_fmac_f64_e32 v[190:191], v[236:237], v[192:193]
	ds_write_b128 v240, v[188:191] offset:1872
	ds_read_b128 v[188:191], v240 offset:5616
	s_waitcnt vmcnt(10) lgkmcnt(2)
	v_mul_f64 v[16:17], v[232:233], v[198:199]
	v_mul_f64 v[194:195], v[230:231], v[198:199]
	v_fma_f64 v[192:193], v[230:231], v[196:197], -v[16:17]
	v_fmac_f64_e32 v[194:195], v[232:233], v[196:197]
	ds_read_b128 v[196:199], v240 offset:7488
	ds_write_b128 v240, v[192:195] offset:3744
	s_waitcnt vmcnt(9) lgkmcnt(2)
	v_mul_f64 v[16:17], v[190:191], v[202:203]
	v_mul_f64 v[194:195], v[188:189], v[202:203]
	v_fma_f64 v[192:193], v[188:189], v[200:201], -v[16:17]
	v_fmac_f64_e32 v[194:195], v[190:191], v[200:201]
	ds_read_b128 v[188:191], v240 offset:9360
	ds_write_b128 v240, v[192:195] offset:5616
	;; [unrolled: 7-line block ×4, first 2 shown]
	s_waitcnt vmcnt(6) lgkmcnt(3)
	v_mul_f64 v[16:17], v[198:199], v[2:3]
	v_mul_f64 v[194:195], v[196:197], v[2:3]
	v_fma_f64 v[192:193], v[196:197], v[0:1], -v[16:17]
	v_fmac_f64_e32 v[194:195], v[198:199], v[0:1]
	ds_write_b128 v240, v[192:195] offset:11232
	ds_read_b128 v[192:195], v240 offset:14976
	s_waitcnt vmcnt(5) lgkmcnt(3)
	v_mul_f64 v[0:1], v[190:191], v[6:7]
	v_mul_f64 v[2:3], v[188:189], v[6:7]
	v_fma_f64 v[0:1], v[188:189], v[4:5], -v[0:1]
	v_fmac_f64_e32 v[2:3], v[190:191], v[4:5]
	ds_write_b128 v240, v[0:3] offset:13104
	ds_read_b128 v[0:3], v240 offset:16848
	s_waitcnt vmcnt(4) lgkmcnt(2)
	v_mul_f64 v[4:5], v[194:195], v[10:11]
	v_mul_f64 v[6:7], v[192:193], v[10:11]
	v_fma_f64 v[4:5], v[192:193], v[8:9], -v[4:5]
	v_fmac_f64_e32 v[6:7], v[194:195], v[8:9]
	ds_read_b128 v[8:11], v240 offset:18720
	ds_write_b128 v240, v[4:7] offset:14976
	s_waitcnt vmcnt(3) lgkmcnt(2)
	v_mul_f64 v[4:5], v[2:3], v[14:15]
	v_mul_f64 v[6:7], v[0:1], v[14:15]
	v_fma_f64 v[4:5], v[0:1], v[12:13], -v[4:5]
	v_fmac_f64_e32 v[6:7], v[2:3], v[12:13]
	ds_read_b128 v[0:3], v240 offset:20592
	ds_write_b128 v240, v[4:7] offset:16848
	s_waitcnt vmcnt(2) lgkmcnt(3)
	v_mul_f64 v[4:5], v[10:11], v[216:217]
	v_mul_f64 v[6:7], v[8:9], v[216:217]
	v_fma_f64 v[4:5], v[8:9], v[214:215], -v[4:5]
	v_fmac_f64_e32 v[6:7], v[10:11], v[214:215]
	ds_write_b128 v240, v[4:7] offset:18720
	ds_read_b128 v[4:7], v240 offset:22464
	s_waitcnt vmcnt(1) lgkmcnt(3)
	v_mul_f64 v[8:9], v[2:3], v[220:221]
	v_mul_f64 v[10:11], v[0:1], v[220:221]
	v_fma_f64 v[8:9], v[0:1], v[218:219], -v[8:9]
	v_fmac_f64_e32 v[10:11], v[2:3], v[218:219]
	s_waitcnt vmcnt(0) lgkmcnt(0)
	v_mul_f64 v[0:1], v[6:7], v[228:229]
	v_mul_f64 v[2:3], v[4:5], v[228:229]
	v_fma_f64 v[0:1], v[4:5], v[226:227], -v[0:1]
	v_fmac_f64_e32 v[2:3], v[6:7], v[226:227]
	ds_write_b128 v240, v[246:249]
	ds_write_b128 v240, v[8:11] offset:20592
	ds_write_b128 v240, v[0:3] offset:22464
	s_waitcnt lgkmcnt(0)
	s_barrier
	ds_read_b128 v[0:3], v240
	ds_read_b128 v[4:7], v240 offset:1872
	ds_read_b128 v[8:11], v240 offset:3744
	;; [unrolled: 1-line block ×12, first 2 shown]
	s_waitcnt lgkmcnt(11)
	v_add_f64 v[18:19], v[2:3], v[6:7]
	v_add_f64 v[16:17], v[0:1], v[4:5]
	s_waitcnt lgkmcnt(10)
	v_add_f64 v[18:19], v[18:19], v[10:11]
	v_add_f64 v[16:17], v[16:17], v[8:9]
	;; [unrolled: 3-line block ×12, first 2 shown]
	v_add_f64 v[6:7], v[6:7], -v[228:229]
	v_add_f64 v[192:193], v[16:17], v[226:227]
	v_add_f64 v[16:17], v[4:5], v[226:227]
	v_add_f64 v[4:5], v[4:5], -v[226:227]
	v_mul_f64 v[20:21], v[6:7], s[18:19]
	v_mul_f64 v[28:29], v[6:7], s[12:13]
	;; [unrolled: 1-line block ×6, first 2 shown]
	v_fma_f64 v[22:23], s[20:21], v[16:17], v[20:21]
	v_fma_f64 v[20:21], v[16:17], s[20:21], -v[20:21]
	v_fma_f64 v[30:31], s[14:15], v[16:17], v[28:29]
	v_fma_f64 v[28:29], v[16:17], s[14:15], -v[28:29]
	;; [unrolled: 2-line block ×6, first 2 shown]
	v_add_f64 v[22:23], v[0:1], v[22:23]
	v_mul_f64 v[24:25], v[18:19], s[20:21]
	v_add_f64 v[20:21], v[0:1], v[20:21]
	v_add_f64 v[30:31], v[0:1], v[30:31]
	v_mul_f64 v[32:33], v[18:19], s[14:15]
	v_add_f64 v[28:29], v[0:1], v[28:29]
	;; [unrolled: 3-line block ×6, first 2 shown]
	v_add_f64 v[6:7], v[10:11], v[222:223]
	v_add_f64 v[10:11], v[10:11], -v[222:223]
	v_fma_f64 v[26:27], s[40:41], v[4:5], v[24:25]
	v_fmac_f64_e32 v[24:25], s[18:19], v[4:5]
	v_fma_f64 v[34:35], s[42:43], v[4:5], v[32:33]
	v_fmac_f64_e32 v[32:33], s[12:13], v[4:5]
	;; [unrolled: 2-line block ×6, first 2 shown]
	v_add_f64 v[4:5], v[8:9], v[220:221]
	v_mul_f64 v[16:17], v[10:11], s[12:13]
	v_add_f64 v[26:27], v[2:3], v[26:27]
	v_add_f64 v[24:25], v[2:3], v[24:25]
	;; [unrolled: 1-line block ×12, first 2 shown]
	v_fma_f64 v[18:19], s[14:15], v[4:5], v[16:17]
	v_add_f64 v[8:9], v[8:9], -v[220:221]
	v_add_f64 v[18:19], v[18:19], v[22:23]
	v_mul_f64 v[22:23], v[6:7], s[14:15]
	v_fma_f64 v[220:221], s[42:43], v[8:9], v[22:23]
	v_fma_f64 v[16:17], v[4:5], s[14:15], -v[16:17]
	v_fmac_f64_e32 v[22:23], s[12:13], v[8:9]
	v_add_f64 v[16:17], v[16:17], v[20:21]
	v_add_f64 v[20:21], v[22:23], v[24:25]
	v_mul_f64 v[22:23], v[10:11], s[16:17]
	v_fma_f64 v[24:25], s[22:23], v[4:5], v[22:23]
	v_add_f64 v[24:25], v[24:25], v[30:31]
	v_mul_f64 v[30:31], v[6:7], s[22:23]
	v_add_f64 v[26:27], v[220:221], v[26:27]
	v_fma_f64 v[220:221], s[38:39], v[8:9], v[30:31]
	v_fma_f64 v[22:23], v[4:5], s[22:23], -v[22:23]
	v_fmac_f64_e32 v[30:31], s[16:17], v[8:9]
	v_add_f64 v[22:23], v[22:23], v[28:29]
	v_add_f64 v[28:29], v[30:31], v[32:33]
	v_mul_f64 v[30:31], v[10:11], s[30:31]
	v_fma_f64 v[32:33], s[34:35], v[4:5], v[30:31]
	v_add_f64 v[32:33], v[32:33], v[38:39]
	v_mul_f64 v[38:39], v[6:7], s[34:35]
	v_add_f64 v[34:35], v[220:221], v[34:35]
	v_fma_f64 v[220:221], s[44:45], v[8:9], v[38:39]
	v_fma_f64 v[30:31], v[4:5], s[34:35], -v[30:31]
	v_fmac_f64_e32 v[38:39], s[30:31], v[8:9]
	v_add_f64 v[30:31], v[30:31], v[36:37]
	v_add_f64 v[36:37], v[38:39], v[40:41]
	v_mul_f64 v[38:39], v[10:11], s[36:37]
	v_fma_f64 v[40:41], s[26:27], v[4:5], v[38:39]
	v_fma_f64 v[38:39], v[4:5], s[26:27], -v[38:39]
	v_add_f64 v[42:43], v[220:221], v[42:43]
	v_mul_f64 v[220:221], v[6:7], s[26:27]
	v_add_f64 v[38:39], v[38:39], v[226:227]
	v_mul_f64 v[226:227], v[10:11], s[28:29]
	v_add_f64 v[40:41], v[40:41], v[228:229]
	v_fma_f64 v[222:223], s[24:25], v[8:9], v[220:221]
	v_fmac_f64_e32 v[220:221], s[36:37], v[8:9]
	v_fma_f64 v[228:229], s[10:11], v[4:5], v[226:227]
	v_fma_f64 v[226:227], v[4:5], s[10:11], -v[226:227]
	v_mul_f64 v[10:11], v[10:11], s[40:41]
	v_add_f64 v[220:221], v[220:221], v[230:231]
	v_mul_f64 v[230:231], v[6:7], s[10:11]
	v_add_f64 v[226:227], v[226:227], v[234:235]
	v_fma_f64 v[234:235], s[20:21], v[4:5], v[10:11]
	v_mul_f64 v[6:7], v[6:7], s[20:21]
	v_fma_f64 v[4:5], v[4:5], s[20:21], -v[10:11]
	v_add_f64 v[10:11], v[218:219], -v[14:15]
	v_add_f64 v[222:223], v[222:223], v[232:233]
	v_add_f64 v[228:229], v[228:229], v[236:237]
	v_fma_f64 v[232:233], s[8:9], v[8:9], v[230:231]
	v_fmac_f64_e32 v[230:231], s[28:29], v[8:9]
	v_fma_f64 v[236:237], s[18:19], v[8:9], v[6:7]
	v_add_f64 v[0:1], v[4:5], v[0:1]
	v_fmac_f64_e32 v[6:7], s[40:41], v[8:9]
	v_add_f64 v[4:5], v[216:217], v[12:13]
	v_add_f64 v[8:9], v[216:217], -v[12:13]
	v_mul_f64 v[12:13], v[10:11], s[8:9]
	v_add_f64 v[2:3], v[6:7], v[2:3]
	v_add_f64 v[6:7], v[218:219], v[14:15]
	v_fma_f64 v[14:15], s[10:11], v[4:5], v[12:13]
	v_add_f64 v[14:15], v[14:15], v[18:19]
	v_mul_f64 v[18:19], v[6:7], s[10:11]
	v_fma_f64 v[216:217], s[28:29], v[8:9], v[18:19]
	v_fma_f64 v[12:13], v[4:5], s[10:11], -v[12:13]
	v_fmac_f64_e32 v[18:19], s[8:9], v[8:9]
	v_add_f64 v[12:13], v[12:13], v[16:17]
	v_add_f64 v[16:17], v[18:19], v[20:21]
	v_mul_f64 v[18:19], v[10:11], s[30:31]
	v_fma_f64 v[20:21], s[34:35], v[4:5], v[18:19]
	v_add_f64 v[20:21], v[20:21], v[24:25]
	v_mul_f64 v[24:25], v[6:7], s[34:35]
	v_add_f64 v[26:27], v[216:217], v[26:27]
	v_fma_f64 v[216:217], s[44:45], v[8:9], v[24:25]
	v_fma_f64 v[18:19], v[4:5], s[34:35], -v[18:19]
	v_fmac_f64_e32 v[24:25], s[30:31], v[8:9]
	v_add_f64 v[18:19], v[18:19], v[22:23]
	v_add_f64 v[22:23], v[24:25], v[28:29]
	v_mul_f64 v[24:25], v[10:11], s[38:39]
	v_fma_f64 v[28:29], s[22:23], v[4:5], v[24:25]
	v_add_f64 v[28:29], v[28:29], v[32:33]
	v_mul_f64 v[32:33], v[6:7], s[22:23]
	v_add_f64 v[34:35], v[216:217], v[34:35]
	;; [unrolled: 10-line block ×3, first 2 shown]
	v_fma_f64 v[216:217], s[18:19], v[8:9], v[40:41]
	v_fma_f64 v[32:33], v[4:5], s[20:21], -v[32:33]
	v_fmac_f64_e32 v[40:41], s[40:41], v[8:9]
	v_add_f64 v[32:33], v[32:33], v[38:39]
	v_add_f64 v[38:39], v[40:41], v[220:221]
	v_mul_f64 v[40:41], v[10:11], s[12:13]
	v_fma_f64 v[218:219], s[14:15], v[4:5], v[40:41]
	v_fma_f64 v[40:41], v[4:5], s[14:15], -v[40:41]
	v_mul_f64 v[10:11], v[10:11], s[24:25]
	v_mul_f64 v[220:221], v[6:7], s[14:15]
	v_add_f64 v[40:41], v[40:41], v[226:227]
	v_fma_f64 v[226:227], s[26:27], v[4:5], v[10:11]
	v_mul_f64 v[6:7], v[6:7], s[26:27]
	v_fma_f64 v[4:5], v[4:5], s[26:27], -v[10:11]
	v_add_f64 v[10:11], v[210:211], -v[214:215]
	v_add_f64 v[216:217], v[216:217], v[222:223]
	v_add_f64 v[218:219], v[218:219], v[228:229]
	v_fma_f64 v[222:223], s[42:43], v[8:9], v[220:221]
	v_fmac_f64_e32 v[220:221], s[12:13], v[8:9]
	v_fma_f64 v[228:229], s[36:37], v[8:9], v[6:7]
	v_add_f64 v[0:1], v[4:5], v[0:1]
	v_fmac_f64_e32 v[6:7], s[24:25], v[8:9]
	v_add_f64 v[4:5], v[208:209], v[212:213]
	v_add_f64 v[8:9], v[208:209], -v[212:213]
	v_mul_f64 v[208:209], v[10:11], s[16:17]
	v_add_f64 v[2:3], v[6:7], v[2:3]
	v_add_f64 v[6:7], v[210:211], v[214:215]
	v_fma_f64 v[210:211], s[22:23], v[4:5], v[208:209]
	v_add_f64 v[14:15], v[210:211], v[14:15]
	v_mul_f64 v[210:211], v[6:7], s[22:23]
	v_fma_f64 v[208:209], v[4:5], s[22:23], -v[208:209]
	v_fma_f64 v[212:213], s[38:39], v[8:9], v[210:211]
	v_add_f64 v[12:13], v[208:209], v[12:13]
	v_fmac_f64_e32 v[210:211], s[16:17], v[8:9]
	v_mul_f64 v[208:209], v[10:11], s[36:37]
	v_add_f64 v[16:17], v[210:211], v[16:17]
	v_fma_f64 v[210:211], s[26:27], v[4:5], v[208:209]
	v_add_f64 v[20:21], v[210:211], v[20:21]
	v_mul_f64 v[210:211], v[6:7], s[26:27]
	v_fma_f64 v[208:209], v[4:5], s[26:27], -v[208:209]
	v_add_f64 v[26:27], v[212:213], v[26:27]
	v_fma_f64 v[212:213], s[24:25], v[8:9], v[210:211]
	v_add_f64 v[18:19], v[208:209], v[18:19]
	v_fmac_f64_e32 v[210:211], s[36:37], v[8:9]
	v_mul_f64 v[208:209], v[10:11], s[40:41]
	v_add_f64 v[22:23], v[210:211], v[22:23]
	v_fma_f64 v[210:211], s[20:21], v[4:5], v[208:209]
	v_add_f64 v[28:29], v[210:211], v[28:29]
	v_mul_f64 v[210:211], v[6:7], s[20:21]
	v_fma_f64 v[208:209], v[4:5], s[20:21], -v[208:209]
	v_add_f64 v[34:35], v[212:213], v[34:35]
	;; [unrolled: 10-line block ×3, first 2 shown]
	v_add_f64 v[42:43], v[212:213], v[42:43]
	v_fma_f64 v[212:213], s[28:29], v[8:9], v[210:211]
	v_add_f64 v[32:33], v[208:209], v[32:33]
	v_fmac_f64_e32 v[210:211], s[8:9], v[8:9]
	v_mul_f64 v[208:209], v[10:11], s[44:45]
	v_mul_f64 v[214:215], v[6:7], s[34:35]
	v_add_f64 v[220:221], v[220:221], v[230:231]
	v_add_f64 v[212:213], v[212:213], v[216:217]
	;; [unrolled: 1-line block ×3, first 2 shown]
	v_fma_f64 v[210:211], s[34:35], v[4:5], v[208:209]
	v_fma_f64 v[216:217], s[30:31], v[8:9], v[214:215]
	v_fma_f64 v[208:209], v[4:5], s[34:35], -v[208:209]
	v_fmac_f64_e32 v[214:215], s[44:45], v[8:9]
	v_mul_f64 v[10:11], v[10:11], s[42:43]
	v_add_f64 v[40:41], v[208:209], v[40:41]
	v_add_f64 v[208:209], v[214:215], v[220:221]
	v_fma_f64 v[214:215], s[14:15], v[4:5], v[10:11]
	v_mul_f64 v[6:7], v[6:7], s[14:15]
	v_fma_f64 v[4:5], v[4:5], s[14:15], -v[10:11]
	v_add_f64 v[10:11], v[202:203], -v[206:207]
	v_add_f64 v[210:211], v[210:211], v[218:219]
	v_fma_f64 v[218:219], s[12:13], v[8:9], v[6:7]
	v_add_f64 v[0:1], v[4:5], v[0:1]
	v_fmac_f64_e32 v[6:7], s[42:43], v[8:9]
	v_add_f64 v[4:5], v[200:201], v[204:205]
	v_add_f64 v[8:9], v[200:201], -v[204:205]
	v_mul_f64 v[200:201], v[10:11], s[24:25]
	v_add_f64 v[2:3], v[6:7], v[2:3]
	v_add_f64 v[6:7], v[202:203], v[206:207]
	v_fma_f64 v[202:203], s[26:27], v[4:5], v[200:201]
	v_add_f64 v[14:15], v[202:203], v[14:15]
	v_mul_f64 v[202:203], v[6:7], s[26:27]
	v_fma_f64 v[200:201], v[4:5], s[26:27], -v[200:201]
	v_fma_f64 v[204:205], s[36:37], v[8:9], v[202:203]
	v_add_f64 v[12:13], v[200:201], v[12:13]
	v_fmac_f64_e32 v[202:203], s[24:25], v[8:9]
	v_mul_f64 v[200:201], v[10:11], s[28:29]
	v_add_f64 v[16:17], v[202:203], v[16:17]
	v_fma_f64 v[202:203], s[10:11], v[4:5], v[200:201]
	v_add_f64 v[20:21], v[202:203], v[20:21]
	v_mul_f64 v[202:203], v[6:7], s[10:11]
	v_fma_f64 v[200:201], v[4:5], s[10:11], -v[200:201]
	v_add_f64 v[26:27], v[204:205], v[26:27]
	v_fma_f64 v[204:205], s[8:9], v[8:9], v[202:203]
	v_add_f64 v[18:19], v[200:201], v[18:19]
	v_fmac_f64_e32 v[202:203], s[28:29], v[8:9]
	v_mul_f64 v[200:201], v[10:11], s[12:13]
	v_add_f64 v[22:23], v[202:203], v[22:23]
	v_fma_f64 v[202:203], s[14:15], v[4:5], v[200:201]
	v_add_f64 v[28:29], v[202:203], v[28:29]
	v_mul_f64 v[202:203], v[6:7], s[14:15]
	v_fma_f64 v[200:201], v[4:5], s[14:15], -v[200:201]
	v_add_f64 v[34:35], v[204:205], v[34:35]
	;; [unrolled: 10-line block ×3, first 2 shown]
	v_add_f64 v[42:43], v[204:205], v[42:43]
	v_fma_f64 v[204:205], s[30:31], v[8:9], v[202:203]
	v_add_f64 v[32:33], v[200:201], v[32:33]
	v_fmac_f64_e32 v[202:203], s[44:45], v[8:9]
	v_mul_f64 v[200:201], v[10:11], s[40:41]
	v_add_f64 v[226:227], v[226:227], v[234:235]
	v_add_f64 v[38:39], v[202:203], v[38:39]
	v_fma_f64 v[202:203], s[20:21], v[4:5], v[200:201]
	v_fma_f64 v[200:201], v[4:5], s[20:21], -v[200:201]
	v_mul_f64 v[10:11], v[10:11], s[16:17]
	v_add_f64 v[232:233], v[232:233], v[246:247]
	v_add_f64 v[236:237], v[236:237], v[250:251]
	;; [unrolled: 1-line block ×4, first 2 shown]
	v_mul_f64 v[202:203], v[6:7], s[20:21]
	v_add_f64 v[40:41], v[200:201], v[40:41]
	v_fma_f64 v[200:201], s[22:23], v[4:5], v[10:11]
	v_mul_f64 v[6:7], v[6:7], s[22:23]
	v_add_f64 v[222:223], v[222:223], v[232:233]
	v_add_f64 v[228:229], v[228:229], v[236:237]
	;; [unrolled: 1-line block ×3, first 2 shown]
	v_fma_f64 v[200:201], s[38:39], v[8:9], v[6:7]
	v_fma_f64 v[4:5], v[4:5], s[22:23], -v[10:11]
	v_fmac_f64_e32 v[6:7], s[16:17], v[8:9]
	v_add_f64 v[230:231], v[190:191], v[198:199]
	v_add_f64 v[234:235], v[190:191], -v[198:199]
	v_add_f64 v[216:217], v[216:217], v[222:223]
	v_add_f64 v[218:219], v[218:219], v[228:229]
	;; [unrolled: 1-line block ×5, first 2 shown]
	v_add_f64 v[232:233], v[188:189], -v[196:197]
	v_mul_f64 v[4:5], v[234:235], s[30:31]
	v_mul_f64 v[6:7], v[230:231], s[34:35]
	v_fma_f64 v[206:207], s[18:19], v[8:9], v[202:203]
	v_fmac_f64_e32 v[202:203], s[40:41], v[8:9]
	v_fma_f64 v[0:1], s[34:35], v[228:229], v[4:5]
	v_fma_f64 v[2:3], s[44:45], v[232:233], v[6:7]
	v_fma_f64 v[4:5], v[228:229], s[34:35], -v[4:5]
	v_fmac_f64_e32 v[6:7], s[30:31], v[232:233]
	v_mul_f64 v[8:9], v[234:235], s[40:41]
	v_add_f64 v[188:189], v[4:5], v[12:13]
	v_add_f64 v[190:191], v[6:7], v[16:17]
	v_fma_f64 v[4:5], s[20:21], v[228:229], v[8:9]
	v_fma_f64 v[8:9], v[228:229], s[20:21], -v[8:9]
	v_mul_f64 v[16:17], v[234:235], s[24:25]
	v_add_f64 v[8:9], v[8:9], v[18:19]
	v_fma_f64 v[12:13], s[26:27], v[228:229], v[16:17]
	v_mul_f64 v[18:19], v[230:231], s[26:27]
	v_fma_f64 v[16:17], v[228:229], s[26:27], -v[16:17]
	v_add_f64 v[0:1], v[0:1], v[14:15]
	v_fma_f64 v[14:15], s[36:37], v[232:233], v[18:19]
	v_add_f64 v[196:197], v[16:17], v[24:25]
	v_fmac_f64_e32 v[18:19], s[24:25], v[232:233]
	v_mul_f64 v[16:17], v[234:235], s[42:43]
	v_add_f64 v[198:199], v[18:19], v[30:31]
	v_fma_f64 v[18:19], s[14:15], v[228:229], v[16:17]
	v_add_f64 v[218:219], v[200:201], v[218:219]
	v_add_f64 v[200:201], v[18:19], v[36:37]
	v_mul_f64 v[18:19], v[230:231], s[14:15]
	v_add_f64 v[204:205], v[204:205], v[212:213]
	v_add_f64 v[4:5], v[4:5], v[20:21]
	v_fma_f64 v[20:21], s[12:13], v[232:233], v[18:19]
	v_fma_f64 v[16:17], v[228:229], s[14:15], -v[16:17]
	v_add_f64 v[212:213], v[206:207], v[216:217]
	v_add_f64 v[216:217], v[202:203], v[208:209]
	;; [unrolled: 1-line block ×4, first 2 shown]
	v_fmac_f64_e32 v[18:19], s[42:43], v[232:233]
	v_mul_f64 v[16:17], v[234:235], s[16:17]
	v_add_f64 v[206:207], v[18:19], v[38:39]
	v_fma_f64 v[18:19], s[22:23], v[228:229], v[16:17]
	v_add_f64 v[208:209], v[18:19], v[210:211]
	v_mul_f64 v[18:19], v[230:231], s[22:23]
	v_fma_f64 v[20:21], s[38:39], v[232:233], v[18:19]
	v_fma_f64 v[16:17], v[228:229], s[22:23], -v[16:17]
	v_add_f64 v[210:211], v[20:21], v[212:213]
	v_add_f64 v[212:213], v[16:17], v[40:41]
	v_fmac_f64_e32 v[18:19], s[16:17], v[232:233]
	v_mul_f64 v[16:17], v[234:235], s[28:29]
	v_add_f64 v[214:215], v[18:19], v[216:217]
	v_fma_f64 v[18:19], s[10:11], v[228:229], v[16:17]
	v_add_f64 v[216:217], v[18:19], v[220:221]
	v_mul_f64 v[18:19], v[230:231], s[10:11]
	v_mul_f64 v[10:11], v[230:231], s[20:21]
	v_fma_f64 v[20:21], s[8:9], v[232:233], v[18:19]
	v_fma_f64 v[16:17], v[228:229], s[10:11], -v[16:17]
	v_fmac_f64_e32 v[18:19], s[28:29], v[232:233]
	v_fma_f64 v[6:7], s[18:19], v[232:233], v[10:11]
	v_fmac_f64_e32 v[10:11], s[40:41], v[232:233]
	v_add_f64 v[218:219], v[20:21], v[218:219]
	v_add_f64 v[220:221], v[16:17], v[222:223]
	;; [unrolled: 1-line block ×8, first 2 shown]
	s_barrier
	ds_write_b128 v224, v[192:195]
	ds_write_b128 v224, v[0:3] offset:16
	ds_write_b128 v224, v[4:7] offset:32
	;; [unrolled: 1-line block ×12, first 2 shown]
	s_waitcnt lgkmcnt(0)
	s_barrier
	ds_read_b128 v[204:207], v240
	ds_read_b128 v[200:203], v240 offset:1872
	ds_read_b128 v[236:239], v240 offset:8112
	;; [unrolled: 1-line block ×11, first 2 shown]
	s_and_saveexec_b64 s[0:1], vcc
	s_cbranch_execz .LBB0_11
; %bb.10:
	ds_read_b128 v[188:191], v240 offset:7488
	ds_read_b128 v[180:183], v240 offset:15600
	;; [unrolled: 1-line block ×3, first 2 shown]
.LBB0_11:
	s_or_b64 exec, exec, s[0:1]
	s_waitcnt lgkmcnt(9)
	v_mul_f64 v[0:1], v[58:59], v[236:237]
	v_fma_f64 v[8:9], v[56:57], v[238:239], -v[0:1]
	s_waitcnt lgkmcnt(7)
	v_mul_f64 v[0:1], v[54:55], v[232:233]
	v_fma_f64 v[12:13], v[52:53], v[234:235], -v[0:1]
	v_mul_f64 v[0:1], v[66:67], v[228:229]
	v_fma_f64 v[16:17], v[64:65], v[230:231], -v[0:1]
	s_waitcnt lgkmcnt(6)
	v_mul_f64 v[0:1], v[62:63], v[220:221]
	v_fma_f64 v[20:21], v[60:61], v[222:223], -v[0:1]
	s_waitcnt lgkmcnt(3)
	;; [unrolled: 3-line block ×3, first 2 shown]
	v_mul_f64 v[0:1], v[90:91], v[216:217]
	v_fma_f64 v[28:29], v[88:89], v[218:219], -v[0:1]
	v_mul_f64 v[0:1], v[94:95], v[212:213]
	v_mul_f64 v[6:7], v[58:59], v[238:239]
	;; [unrolled: 1-line block ×3, first 2 shown]
	v_fma_f64 v[32:33], v[92:93], v[214:215], -v[0:1]
	s_waitcnt lgkmcnt(0)
	v_mul_f64 v[0:1], v[86:87], v[208:209]
	v_fmac_f64_e32 v[6:7], v[56:57], v[236:237]
	v_fmac_f64_e32 v[10:11], v[52:53], v[232:233]
	v_fma_f64 v[36:37], v[84:85], v[210:211], -v[0:1]
	v_mul_f64 v[0:1], v[74:75], v[180:181]
	v_fma_f64 v[40:41], v[72:73], v[182:183], -v[0:1]
	v_mul_f64 v[0:1], v[70:71], v[184:185]
	v_add_f64 v[2:3], v[6:7], v[10:11]
	s_mov_b32 s0, 0xe8584caa
	v_mul_f64 v[14:15], v[66:67], v[230:231]
	v_mul_f64 v[18:19], v[62:63], v[222:223]
	v_fma_f64 v[58:59], v[68:69], v[186:187], -v[0:1]
	v_add_f64 v[0:1], v[204:205], v[6:7]
	v_fmac_f64_e32 v[204:205], -0.5, v[2:3]
	v_add_f64 v[2:3], v[8:9], -v[12:13]
	s_mov_b32 s1, 0xbfebb67a
	s_mov_b32 s9, 0x3febb67a
	;; [unrolled: 1-line block ×3, first 2 shown]
	v_fmac_f64_e32 v[14:15], v[64:65], v[228:229]
	v_fmac_f64_e32 v[18:19], v[60:61], v[220:221]
	v_fma_f64 v[4:5], s[0:1], v[2:3], v[204:205]
	v_fmac_f64_e32 v[204:205], s[8:9], v[2:3]
	v_add_f64 v[2:3], v[206:207], v[8:9]
	v_add_f64 v[8:9], v[8:9], v[12:13]
	;; [unrolled: 1-line block ×3, first 2 shown]
	v_fmac_f64_e32 v[206:207], -0.5, v[8:9]
	v_add_f64 v[8:9], v[6:7], -v[10:11]
	v_add_f64 v[10:11], v[14:15], v[18:19]
	v_fma_f64 v[6:7], s[8:9], v[8:9], v[206:207]
	v_fmac_f64_e32 v[206:207], s[0:1], v[8:9]
	v_add_f64 v[8:9], v[200:201], v[14:15]
	v_fmac_f64_e32 v[200:201], -0.5, v[10:11]
	v_add_f64 v[10:11], v[16:17], -v[20:21]
	v_mul_f64 v[22:23], v[98:99], v[226:227]
	v_add_f64 v[2:3], v[2:3], v[12:13]
	v_fma_f64 v[12:13], s[0:1], v[10:11], v[200:201]
	v_fmac_f64_e32 v[200:201], s[8:9], v[10:11]
	v_add_f64 v[10:11], v[202:203], v[16:17]
	v_add_f64 v[16:17], v[16:17], v[20:21]
	v_fmac_f64_e32 v[22:23], v[96:97], v[224:225]
	v_mul_f64 v[26:27], v[90:91], v[218:219]
	v_fmac_f64_e32 v[202:203], -0.5, v[16:17]
	v_add_f64 v[16:17], v[14:15], -v[18:19]
	v_fmac_f64_e32 v[26:27], v[88:89], v[216:217]
	v_fma_f64 v[14:15], s[8:9], v[16:17], v[202:203]
	v_fmac_f64_e32 v[202:203], s[0:1], v[16:17]
	v_add_f64 v[16:17], v[196:197], v[22:23]
	v_add_f64 v[60:61], v[16:17], v[26:27]
	;; [unrolled: 1-line block ×3, first 2 shown]
	v_fmac_f64_e32 v[196:197], -0.5, v[16:17]
	v_add_f64 v[16:17], v[24:25], -v[28:29]
	v_fma_f64 v[64:65], s[0:1], v[16:17], v[196:197]
	v_fmac_f64_e32 v[196:197], s[8:9], v[16:17]
	v_add_f64 v[16:17], v[198:199], v[24:25]
	v_mul_f64 v[30:31], v[94:95], v[214:215]
	v_add_f64 v[62:63], v[16:17], v[28:29]
	v_add_f64 v[16:17], v[24:25], v[28:29]
	v_fmac_f64_e32 v[30:31], v[92:93], v[212:213]
	v_mul_f64 v[34:35], v[86:87], v[210:211]
	v_fmac_f64_e32 v[198:199], -0.5, v[16:17]
	v_add_f64 v[16:17], v[22:23], -v[26:27]
	v_fmac_f64_e32 v[34:35], v[84:85], v[208:209]
	v_mul_f64 v[42:43], v[70:71], v[186:187]
	v_fma_f64 v[66:67], s[8:9], v[16:17], v[198:199]
	v_fmac_f64_e32 v[198:199], s[0:1], v[16:17]
	v_add_f64 v[16:17], v[192:193], v[30:31]
	v_fmac_f64_e32 v[42:43], v[68:69], v[184:185]
	v_add_f64 v[68:69], v[16:17], v[34:35]
	v_add_f64 v[16:17], v[30:31], v[34:35]
	v_mul_f64 v[38:39], v[74:75], v[182:183]
	v_fmac_f64_e32 v[192:193], -0.5, v[16:17]
	v_add_f64 v[16:17], v[32:33], -v[36:37]
	v_fmac_f64_e32 v[38:39], v[72:73], v[180:181]
	v_fma_f64 v[72:73], s[0:1], v[16:17], v[192:193]
	v_fmac_f64_e32 v[192:193], s[8:9], v[16:17]
	v_add_f64 v[16:17], v[194:195], v[32:33]
	v_add_f64 v[70:71], v[16:17], v[36:37]
	v_add_f64 v[16:17], v[32:33], v[36:37]
	v_fmac_f64_e32 v[194:195], -0.5, v[16:17]
	v_add_f64 v[16:17], v[30:31], -v[34:35]
	v_fma_f64 v[74:75], s[8:9], v[16:17], v[194:195]
	v_fmac_f64_e32 v[194:195], s[0:1], v[16:17]
	v_add_f64 v[16:17], v[188:189], v[38:39]
	v_add_f64 v[52:53], v[16:17], v[42:43]
	v_add_f64 v[16:17], v[38:39], v[42:43]
	v_fmac_f64_e32 v[188:189], -0.5, v[16:17]
	v_add_f64 v[16:17], v[40:41], -v[58:59]
	v_fma_f64 v[56:57], s[0:1], v[16:17], v[188:189]
	v_fmac_f64_e32 v[188:189], s[8:9], v[16:17]
	v_add_f64 v[16:17], v[190:191], v[40:41]
	v_add_f64 v[54:55], v[16:17], v[58:59]
	v_add_f64 v[16:17], v[40:41], v[58:59]
	v_fmac_f64_e32 v[190:191], -0.5, v[16:17]
	v_add_f64 v[16:17], v[38:39], -v[42:43]
	v_fma_f64 v[58:59], s[8:9], v[16:17], v[190:191]
	v_fmac_f64_e32 v[190:191], s[0:1], v[16:17]
	v_accvgpr_read_b32 v16, a46
	v_add_f64 v[8:9], v[8:9], v[18:19]
	v_add_f64 v[10:11], v[10:11], v[20:21]
	s_barrier
	ds_write_b128 v16, v[0:3]
	ds_write_b128 v16, v[4:7] offset:208
	ds_write_b128 v16, v[204:207] offset:416
	v_accvgpr_read_b32 v0, a47
	ds_write_b128 v0, v[8:11]
	ds_write_b128 v0, v[12:15] offset:208
	ds_write_b128 v0, v[200:203] offset:416
	v_accvgpr_read_b32 v0, a48
	;; [unrolled: 4-line block ×3, first 2 shown]
	ds_write_b128 v0, v[68:71]
	ds_write_b128 v0, v[72:75] offset:208
	ds_write_b128 v0, v[192:195] offset:416
	s_and_saveexec_b64 s[0:1], vcc
	s_cbranch_execz .LBB0_13
; %bb.12:
	v_accvgpr_read_b32 v0, a44
	v_accvgpr_read_b32 v1, a45
	v_mad_legacy_u16 v0, v0, 39, v1
	v_lshlrev_b32_e32 v0, 4, v0
	ds_write_b128 v0, v[52:55]
	ds_write_b128 v0, v[56:59] offset:208
	ds_write_b128 v0, v[188:191] offset:416
.LBB0_13:
	s_or_b64 exec, exec, s[0:1]
	s_waitcnt lgkmcnt(0)
	s_barrier
	ds_read_b128 v[72:75], v240
	ds_read_b128 v[68:71], v240 offset:1872
	ds_read_b128 v[196:199], v240 offset:8112
	;; [unrolled: 1-line block ×11, first 2 shown]
	s_and_saveexec_b64 s[0:1], vcc
	s_cbranch_execz .LBB0_15
; %bb.14:
	ds_read_b128 v[52:55], v240 offset:7488
	ds_read_b128 v[56:59], v240 offset:15600
	;; [unrolled: 1-line block ×3, first 2 shown]
.LBB0_15:
	s_or_b64 exec, exec, s[0:1]
	s_waitcnt lgkmcnt(9)
	v_mul_f64 v[0:1], v[106:107], v[196:197]
	v_fma_f64 v[8:9], v[104:105], v[198:199], -v[0:1]
	s_waitcnt lgkmcnt(7)
	v_mul_f64 v[0:1], v[102:103], v[192:193]
	v_fma_f64 v[12:13], v[100:101], v[194:195], -v[0:1]
	v_mul_f64 v[0:1], v[130:131], v[184:185]
	v_fma_f64 v[16:17], v[128:129], v[186:187], -v[0:1]
	s_waitcnt lgkmcnt(6)
	v_mul_f64 v[0:1], v[126:127], v[96:97]
	v_fma_f64 v[20:21], v[124:125], v[98:99], -v[0:1]
	s_waitcnt lgkmcnt(3)
	v_mul_f64 v[0:1], v[114:115], v[180:181]
	v_mul_f64 v[6:7], v[106:107], v[198:199]
	v_mul_f64 v[10:11], v[102:103], v[194:195]
	v_fma_f64 v[24:25], v[112:113], v[182:183], -v[0:1]
	s_waitcnt lgkmcnt(1)
	v_mul_f64 v[0:1], v[110:111], v[92:93]
	v_fmac_f64_e32 v[6:7], v[104:105], v[196:197]
	v_fmac_f64_e32 v[10:11], v[100:101], v[192:193]
	v_fma_f64 v[28:29], v[108:109], v[94:95], -v[0:1]
	v_mul_f64 v[0:1], v[122:123], v[88:89]
	v_fma_f64 v[32:33], v[120:121], v[90:91], -v[0:1]
	s_waitcnt lgkmcnt(0)
	v_mul_f64 v[0:1], v[118:119], v[84:85]
	v_add_f64 v[2:3], v[6:7], v[10:11]
	s_mov_b32 s0, 0xe8584caa
	v_mul_f64 v[14:15], v[130:131], v[186:187]
	v_mul_f64 v[18:19], v[126:127], v[98:99]
	v_fma_f64 v[36:37], v[116:117], v[86:87], -v[0:1]
	v_add_f64 v[0:1], v[72:73], v[6:7]
	v_fmac_f64_e32 v[72:73], -0.5, v[2:3]
	v_add_f64 v[2:3], v[8:9], -v[12:13]
	s_mov_b32 s1, 0xbfebb67a
	s_mov_b32 s8, s0
	v_fmac_f64_e32 v[14:15], v[128:129], v[184:185]
	v_fmac_f64_e32 v[18:19], v[124:125], v[96:97]
	v_fma_f64 v[4:5], s[0:1], v[2:3], v[72:73]
	v_fmac_f64_e32 v[72:73], s[8:9], v[2:3]
	v_add_f64 v[2:3], v[74:75], v[8:9]
	v_add_f64 v[8:9], v[8:9], v[12:13]
	;; [unrolled: 1-line block ×3, first 2 shown]
	v_fmac_f64_e32 v[74:75], -0.5, v[8:9]
	v_add_f64 v[8:9], v[6:7], -v[10:11]
	v_add_f64 v[10:11], v[14:15], v[18:19]
	v_fma_f64 v[6:7], s[8:9], v[8:9], v[74:75]
	v_fmac_f64_e32 v[74:75], s[0:1], v[8:9]
	v_add_f64 v[8:9], v[68:69], v[14:15]
	v_fmac_f64_e32 v[68:69], -0.5, v[10:11]
	v_add_f64 v[10:11], v[16:17], -v[20:21]
	v_mul_f64 v[22:23], v[114:115], v[182:183]
	v_add_f64 v[2:3], v[2:3], v[12:13]
	v_fma_f64 v[12:13], s[0:1], v[10:11], v[68:69]
	v_fmac_f64_e32 v[68:69], s[8:9], v[10:11]
	v_add_f64 v[10:11], v[70:71], v[16:17]
	v_add_f64 v[16:17], v[16:17], v[20:21]
	v_fmac_f64_e32 v[22:23], v[112:113], v[180:181]
	v_mul_f64 v[26:27], v[110:111], v[94:95]
	v_fmac_f64_e32 v[70:71], -0.5, v[16:17]
	v_add_f64 v[16:17], v[14:15], -v[18:19]
	v_fmac_f64_e32 v[26:27], v[108:109], v[92:93]
	v_mul_f64 v[34:35], v[118:119], v[86:87]
	v_fma_f64 v[14:15], s[8:9], v[16:17], v[70:71]
	v_fmac_f64_e32 v[70:71], s[0:1], v[16:17]
	v_add_f64 v[16:17], v[64:65], v[22:23]
	v_fmac_f64_e32 v[34:35], v[116:117], v[84:85]
	v_add_f64 v[84:85], v[16:17], v[26:27]
	v_add_f64 v[16:17], v[22:23], v[26:27]
	v_mul_f64 v[30:31], v[122:123], v[90:91]
	v_fmac_f64_e32 v[64:65], -0.5, v[16:17]
	v_add_f64 v[16:17], v[24:25], -v[28:29]
	v_fmac_f64_e32 v[30:31], v[120:121], v[88:89]
	v_fma_f64 v[88:89], s[0:1], v[16:17], v[64:65]
	v_fmac_f64_e32 v[64:65], s[8:9], v[16:17]
	v_add_f64 v[16:17], v[66:67], v[24:25]
	v_add_f64 v[86:87], v[16:17], v[28:29]
	v_add_f64 v[16:17], v[24:25], v[28:29]
	v_fmac_f64_e32 v[66:67], -0.5, v[16:17]
	v_add_f64 v[16:17], v[22:23], -v[26:27]
	v_fma_f64 v[90:91], s[8:9], v[16:17], v[66:67]
	v_fmac_f64_e32 v[66:67], s[0:1], v[16:17]
	v_add_f64 v[16:17], v[60:61], v[30:31]
	v_add_f64 v[92:93], v[16:17], v[34:35]
	v_add_f64 v[16:17], v[30:31], v[34:35]
	v_fmac_f64_e32 v[60:61], -0.5, v[16:17]
	v_add_f64 v[16:17], v[32:33], -v[36:37]
	v_fma_f64 v[96:97], s[0:1], v[16:17], v[60:61]
	v_fmac_f64_e32 v[60:61], s[8:9], v[16:17]
	v_add_f64 v[16:17], v[62:63], v[32:33]
	v_add_f64 v[94:95], v[16:17], v[36:37]
	v_add_f64 v[16:17], v[32:33], v[36:37]
	v_fmac_f64_e32 v[62:63], -0.5, v[16:17]
	v_add_f64 v[16:17], v[30:31], -v[34:35]
	v_fma_f64 v[98:99], s[8:9], v[16:17], v[62:63]
	v_fmac_f64_e32 v[62:63], s[0:1], v[16:17]
	v_accvgpr_read_b32 v16, a51
	v_add_f64 v[8:9], v[8:9], v[18:19]
	v_add_f64 v[10:11], v[10:11], v[20:21]
	s_barrier
	ds_write_b128 v16, v[0:3]
	ds_write_b128 v16, v[4:7] offset:624
	ds_write_b128 v16, v[72:75] offset:1248
	ds_write_b128 v245, v[8:11]
	ds_write_b128 v245, v[12:15] offset:624
	ds_write_b128 v245, v[68:71] offset:1248
	v_accvgpr_read_b32 v0, a52
	ds_write_b128 v0, v[84:87]
	ds_write_b128 v0, v[88:91] offset:624
	ds_write_b128 v0, v[64:67] offset:1248
	ds_write_b128 v243, v[92:95]
	ds_write_b128 v243, v[96:99] offset:624
	ds_write_b128 v243, v[60:63] offset:1248
	s_and_saveexec_b64 s[10:11], vcc
	s_cbranch_execz .LBB0_17
; %bb.16:
	v_mul_f64 v[0:1], v[82:83], v[56:57]
	v_fma_f64 v[4:5], v[80:81], v[58:59], -v[0:1]
	v_mul_f64 v[0:1], v[78:79], v[188:189]
	v_fma_f64 v[8:9], v[76:77], v[190:191], -v[0:1]
	v_mul_f64 v[12:13], v[82:83], v[58:59]
	v_mul_f64 v[14:15], v[78:79], v[190:191]
	v_add_f64 v[0:1], v[4:5], v[8:9]
	v_fmac_f64_e32 v[12:13], v[80:81], v[56:57]
	v_fmac_f64_e32 v[14:15], v[76:77], v[188:189]
	v_fma_f64 v[2:3], -0.5, v[0:1], v[54:55]
	v_add_f64 v[0:1], v[12:13], -v[14:15]
	v_fma_f64 v[6:7], s[0:1], v[0:1], v[2:3]
	v_fmac_f64_e32 v[2:3], s[8:9], v[0:1]
	v_add_f64 v[0:1], v[54:55], v[4:5]
	v_add_f64 v[10:11], v[0:1], v[8:9]
	;; [unrolled: 1-line block ×3, first 2 shown]
	v_fma_f64 v[0:1], -0.5, v[0:1], v[52:53]
	v_add_f64 v[8:9], v[4:5], -v[8:9]
	v_fma_f64 v[4:5], s[8:9], v[8:9], v[0:1]
	v_fmac_f64_e32 v[0:1], s[0:1], v[8:9]
	v_add_f64 v[8:9], v[52:53], v[12:13]
	v_add_f64 v[8:9], v[8:9], v[14:15]
	v_accvgpr_read_b32 v12, a50
	ds_write_b128 v12, v[8:11] offset:22464
	ds_write_b128 v12, v[0:3] offset:23088
	;; [unrolled: 1-line block ×3, first 2 shown]
.LBB0_17:
	s_or_b64 exec, exec, s[10:11]
	s_waitcnt lgkmcnt(0)
	s_barrier
	ds_read_b128 v[56:59], v240
	ds_read_b128 v[0:3], v240 offset:1872
	ds_read_b128 v[4:7], v240 offset:3744
	;; [unrolled: 1-line block ×12, first 2 shown]
	s_waitcnt lgkmcnt(11)
	v_mul_f64 v[16:17], v[146:147], v[2:3]
	v_fmac_f64_e32 v[16:17], v[144:145], v[0:1]
	v_mul_f64 v[0:1], v[146:147], v[0:1]
	v_fma_f64 v[0:1], v[144:145], v[2:3], -v[0:1]
	s_waitcnt lgkmcnt(10)
	v_mul_f64 v[2:3], v[142:143], v[6:7]
	v_fmac_f64_e32 v[2:3], v[140:141], v[4:5]
	v_mul_f64 v[4:5], v[142:143], v[4:5]
	v_fma_f64 v[4:5], v[140:141], v[6:7], -v[4:5]
	s_waitcnt lgkmcnt(9)
	v_mul_f64 v[6:7], v[138:139], v[8:9]
	v_fma_f64 v[92:93], v[136:137], v[10:11], -v[6:7]
	s_waitcnt lgkmcnt(8)
	v_mul_f64 v[6:7], v[134:135], v[12:13]
	v_add_f64 v[18:19], v[58:59], v[0:1]
	v_mul_f64 v[90:91], v[138:139], v[10:11]
	v_mul_f64 v[82:83], v[134:135], v[14:15]
	v_fma_f64 v[84:85], v[132:133], v[14:15], -v[6:7]
	v_add_f64 v[14:15], v[56:57], v[16:17]
	v_add_f64 v[18:19], v[18:19], v[4:5]
	v_fmac_f64_e32 v[90:91], v[136:137], v[8:9]
	s_waitcnt lgkmcnt(7)
	v_mul_f64 v[6:7], v[162:163], v[52:53]
	v_add_f64 v[14:15], v[14:15], v[2:3]
	v_add_f64 v[18:19], v[18:19], v[92:93]
	v_fmac_f64_e32 v[82:83], v[132:133], v[12:13]
	v_mul_f64 v[74:75], v[162:163], v[54:55]
	v_fma_f64 v[76:77], v[160:161], v[54:55], -v[6:7]
	s_waitcnt lgkmcnt(6)
	v_mul_f64 v[66:67], v[158:159], v[70:71]
	v_mul_f64 v[6:7], v[158:159], v[68:69]
	v_add_f64 v[14:15], v[14:15], v[90:91]
	v_add_f64 v[18:19], v[18:19], v[84:85]
	v_fmac_f64_e32 v[74:75], v[160:161], v[52:53]
	v_fmac_f64_e32 v[66:67], v[156:157], v[68:69]
	v_fma_f64 v[68:69], v[156:157], v[70:71], -v[6:7]
	s_waitcnt lgkmcnt(5)
	v_mul_f64 v[6:7], v[154:155], v[78:79]
	v_add_f64 v[14:15], v[14:15], v[82:83]
	v_add_f64 v[18:19], v[18:19], v[76:77]
	v_mul_f64 v[70:71], v[154:155], v[80:81]
	v_fma_f64 v[72:73], v[152:153], v[80:81], -v[6:7]
	s_waitcnt lgkmcnt(4)
	v_mul_f64 v[6:7], v[150:151], v[86:87]
	v_add_f64 v[14:15], v[14:15], v[74:75]
	v_add_f64 v[18:19], v[18:19], v[68:69]
	v_fmac_f64_e32 v[70:71], v[152:153], v[78:79]
	v_mul_f64 v[78:79], v[150:151], v[88:89]
	v_fma_f64 v[80:81], v[148:149], v[88:89], -v[6:7]
	s_waitcnt lgkmcnt(3)
	v_mul_f64 v[6:7], v[178:179], v[94:95]
	v_add_f64 v[14:15], v[14:15], v[66:67]
	v_add_f64 v[18:19], v[18:19], v[72:73]
	v_fmac_f64_e32 v[78:79], v[148:149], v[86:87]
	;; [unrolled: 7-line block ×4, first 2 shown]
	v_mul_f64 v[6:7], v[170:171], v[104:105]
	v_fma_f64 v[8:9], v[168:169], v[104:105], -v[8:9]
	s_waitcnt lgkmcnt(0)
	v_mul_f64 v[12:13], v[166:167], v[106:107]
	v_add_f64 v[14:15], v[14:15], v[86:87]
	v_add_f64 v[18:19], v[18:19], v[96:97]
	v_mov_b32_e32 v60, s2
	v_mov_b32_e32 v61, s3
	v_fmac_f64_e32 v[6:7], v[168:169], v[102:103]
	v_mul_f64 v[10:11], v[166:167], v[108:109]
	v_fma_f64 v[12:13], v[164:165], v[108:109], -v[12:13]
	v_add_f64 v[14:15], v[14:15], v[94:95]
	v_add_f64 v[18:19], v[18:19], v[8:9]
	s_mov_b32 s18, 0xe00740e9
	s_mov_b32 s12, 0x1ea71119
	;; [unrolled: 1-line block ×6, first 2 shown]
	v_mad_u64_u32 v[62:63], s[0:1], s6, v244, 0
	v_fmac_f64_e32 v[10:11], v[164:165], v[106:107]
	v_add_f64 v[14:15], v[14:15], v[6:7]
	v_add_f64 v[54:55], v[18:19], v[12:13]
	;; [unrolled: 1-line block ×3, first 2 shown]
	s_mov_b32 s19, 0x3fec55a7
	s_mov_b32 s13, 0x3fe22d96
	;; [unrolled: 1-line block ×7, first 2 shown]
	v_add_f64 v[52:53], v[14:15], v[10:11]
	v_add_f64 v[14:15], v[16:17], v[10:11]
	v_add_f64 v[10:11], v[16:17], -v[10:11]
	s_mov_b32 s16, 0x4267c47c
	v_mul_f64 v[20:21], v[18:19], s[18:19]
	s_mov_b32 s10, 0x42a4c3d2
	v_mul_f64 v[28:29], v[18:19], s[12:13]
	;; [unrolled: 2-line block ×6, first 2 shown]
	s_mov_b32 s41, 0x3fcea1e5
	s_mov_b32 s40, s36
	v_add_f64 v[0:1], v[0:1], -v[12:13]
	s_mov_b32 s17, 0xbfddbe06
	s_mov_b32 s21, 0x3fddbe06
	s_mov_b32 s20, s16
	s_mov_b32 s11, 0xbfea55e2
	s_mov_b32 s15, 0x3fea55e2
	s_mov_b32 s14, s10
	s_mov_b32 s1, 0xbfefc445
	s_mov_b32 s9, 0x3fefc445
	s_mov_b32 s8, s0
	s_mov_b32 s23, 0xbfedeba7
	s_mov_b32 s27, 0x3fedeba7
	s_mov_b32 s26, s22
	s_mov_b32 s29, 0xbfe5384d
	s_mov_b32 s35, 0x3fe5384d
	s_mov_b32 s34, s28
	v_fma_f64 v[112:113], s[40:41], v[10:11], v[18:19]
	v_fmac_f64_e32 v[18:19], s[36:37], v[10:11]
	v_mul_f64 v[12:13], v[0:1], s[16:17]
	v_fma_f64 v[22:23], s[20:21], v[10:11], v[20:21]
	v_fmac_f64_e32 v[20:21], s[16:17], v[10:11]
	v_mul_f64 v[24:25], v[0:1], s[10:11]
	;; [unrolled: 3-line block ×6, first 2 shown]
	v_add_f64 v[10:11], v[58:59], v[18:19]
	v_add_f64 v[18:19], v[4:5], v[8:9]
	v_add_f64 v[4:5], v[4:5], -v[8:9]
	v_fma_f64 v[16:17], s[18:19], v[14:15], v[12:13]
	v_fma_f64 v[12:13], v[14:15], s[18:19], -v[12:13]
	v_fma_f64 v[26:27], s[12:13], v[14:15], v[24:25]
	v_fma_f64 v[24:25], v[14:15], s[12:13], -v[24:25]
	;; [unrolled: 2-line block ×6, first 2 shown]
	v_add_f64 v[14:15], v[2:3], v[6:7]
	v_add_f64 v[2:3], v[2:3], -v[6:7]
	v_mul_f64 v[6:7], v[4:5], s[10:11]
	v_add_f64 v[16:17], v[56:57], v[16:17]
	v_fma_f64 v[8:9], s[12:13], v[14:15], v[6:7]
	v_add_f64 v[8:9], v[8:9], v[16:17]
	v_mul_f64 v[16:17], v[18:19], s[12:13]
	v_add_f64 v[12:13], v[56:57], v[12:13]
	v_add_f64 v[20:21], v[58:59], v[20:21]
	;; [unrolled: 1-line block ×12, first 2 shown]
	v_fma_f64 v[56:57], s[14:15], v[2:3], v[16:17]
	v_fma_f64 v[6:7], v[14:15], s[12:13], -v[6:7]
	v_fmac_f64_e32 v[16:17], s[10:11], v[2:3]
	v_add_f64 v[6:7], v[6:7], v[12:13]
	v_add_f64 v[12:13], v[16:17], v[20:21]
	v_mul_f64 v[16:17], v[4:5], s[22:23]
	v_fma_f64 v[20:21], s[24:25], v[14:15], v[16:17]
	v_add_f64 v[22:23], v[58:59], v[22:23]
	v_add_f64 v[20:21], v[20:21], v[26:27]
	v_mul_f64 v[26:27], v[18:19], s[24:25]
	v_add_f64 v[28:29], v[58:59], v[28:29]
	v_add_f64 v[22:23], v[56:57], v[22:23]
	v_fma_f64 v[56:57], s[26:27], v[2:3], v[26:27]
	v_fma_f64 v[16:17], v[14:15], s[24:25], -v[16:17]
	v_fmac_f64_e32 v[26:27], s[22:23], v[2:3]
	v_add_f64 v[16:17], v[16:17], v[24:25]
	v_add_f64 v[24:25], v[26:27], v[28:29]
	v_mul_f64 v[26:27], v[4:5], s[36:37]
	v_fma_f64 v[28:29], s[38:39], v[14:15], v[26:27]
	v_add_f64 v[30:31], v[58:59], v[30:31]
	v_add_f64 v[28:29], v[28:29], v[34:35]
	v_mul_f64 v[34:35], v[18:19], s[38:39]
	v_add_f64 v[36:37], v[58:59], v[36:37]
	v_add_f64 v[30:31], v[56:57], v[30:31]
	;; [unrolled: 12-line block ×3, first 2 shown]
	v_fma_f64 v[56:57], s[28:29], v[2:3], v[42:43]
	v_fma_f64 v[34:35], v[14:15], s[30:31], -v[34:35]
	v_fmac_f64_e32 v[42:43], s[34:35], v[2:3]
	v_add_f64 v[34:35], v[34:35], v[40:41]
	v_add_f64 v[40:41], v[42:43], v[98:99]
	v_mul_f64 v[42:43], v[4:5], s[8:9]
	v_add_f64 v[100:101], v[58:59], v[100:101]
	v_add_f64 v[108:109], v[58:59], v[108:109]
	;; [unrolled: 1-line block ×4, first 2 shown]
	v_fma_f64 v[58:59], s[2:3], v[14:15], v[42:43]
	v_mul_f64 v[98:99], v[18:19], s[2:3]
	v_mul_f64 v[18:19], v[18:19], s[18:19]
	v_add_f64 v[58:59], v[58:59], v[104:105]
	v_fma_f64 v[42:43], v[14:15], s[2:3], -v[42:43]
	v_mul_f64 v[4:5], v[4:5], s[20:21]
	v_fma_f64 v[104:105], s[16:17], v[2:3], v[18:19]
	v_fmac_f64_e32 v[18:19], s[20:21], v[2:3]
	v_add_f64 v[56:57], v[56:57], v[100:101]
	v_fma_f64 v[100:101], s[0:1], v[2:3], v[98:99]
	v_add_f64 v[42:43], v[42:43], v[102:103]
	v_fmac_f64_e32 v[98:99], s[8:9], v[2:3]
	v_fma_f64 v[102:103], s[18:19], v[14:15], v[4:5]
	v_fma_f64 v[4:5], v[14:15], s[18:19], -v[4:5]
	v_add_f64 v[2:3], v[18:19], v[10:11]
	v_add_f64 v[18:19], v[92:93], -v[96:97]
	v_add_f64 v[0:1], v[4:5], v[0:1]
	v_add_f64 v[4:5], v[90:91], v[94:95]
	v_add_f64 v[14:15], v[90:91], -v[94:95]
	v_mul_f64 v[90:91], v[18:19], s[0:1]
	v_add_f64 v[10:11], v[92:93], v[96:97]
	v_fma_f64 v[92:93], s[2:3], v[4:5], v[90:91]
	v_add_f64 v[8:9], v[92:93], v[8:9]
	v_mul_f64 v[92:93], v[10:11], s[2:3]
	v_fma_f64 v[90:91], v[4:5], s[2:3], -v[90:91]
	v_fma_f64 v[94:95], s[8:9], v[14:15], v[92:93]
	v_add_f64 v[6:7], v[90:91], v[6:7]
	v_fmac_f64_e32 v[92:93], s[0:1], v[14:15]
	v_mul_f64 v[90:91], v[18:19], s[36:37]
	v_add_f64 v[12:13], v[92:93], v[12:13]
	v_fma_f64 v[92:93], s[38:39], v[4:5], v[90:91]
	v_add_f64 v[20:21], v[92:93], v[20:21]
	v_mul_f64 v[92:93], v[10:11], s[38:39]
	v_fma_f64 v[90:91], v[4:5], s[38:39], -v[90:91]
	v_add_f64 v[22:23], v[94:95], v[22:23]
	v_fma_f64 v[94:95], s[40:41], v[14:15], v[92:93]
	v_add_f64 v[16:17], v[90:91], v[16:17]
	v_fmac_f64_e32 v[92:93], s[36:37], v[14:15]
	v_mul_f64 v[90:91], v[18:19], s[26:27]
	v_add_f64 v[24:25], v[92:93], v[24:25]
	v_fma_f64 v[92:93], s[24:25], v[4:5], v[90:91]
	v_add_f64 v[28:29], v[92:93], v[28:29]
	v_mul_f64 v[92:93], v[10:11], s[24:25]
	v_fma_f64 v[90:91], v[4:5], s[24:25], -v[90:91]
	v_add_f64 v[30:31], v[94:95], v[30:31]
	;; [unrolled: 10-line block ×3, first 2 shown]
	v_fma_f64 v[94:95], s[16:17], v[14:15], v[92:93]
	v_add_f64 v[34:35], v[90:91], v[34:35]
	v_fmac_f64_e32 v[92:93], s[20:21], v[14:15]
	v_mul_f64 v[90:91], v[18:19], s[10:11]
	v_add_f64 v[40:41], v[92:93], v[40:41]
	v_fma_f64 v[92:93], s[12:13], v[4:5], v[90:91]
	v_add_f64 v[58:59], v[92:93], v[58:59]
	v_mul_f64 v[92:93], v[10:11], s[12:13]
	v_add_f64 v[98:99], v[98:99], v[106:107]
	v_add_f64 v[56:57], v[94:95], v[56:57]
	v_fma_f64 v[94:95], s[14:15], v[14:15], v[92:93]
	v_fma_f64 v[90:91], v[4:5], s[12:13], -v[90:91]
	v_fmac_f64_e32 v[92:93], s[10:11], v[14:15]
	v_mul_f64 v[18:19], v[18:19], s[28:29]
	v_add_f64 v[42:43], v[90:91], v[42:43]
	v_add_f64 v[90:91], v[92:93], v[98:99]
	v_fma_f64 v[92:93], s[30:31], v[4:5], v[18:19]
	v_mul_f64 v[10:11], v[10:11], s[30:31]
	v_fma_f64 v[4:5], v[4:5], s[30:31], -v[18:19]
	v_add_f64 v[18:19], v[84:85], -v[88:89]
	v_fma_f64 v[96:97], s[34:35], v[14:15], v[10:11]
	v_add_f64 v[0:1], v[4:5], v[0:1]
	v_fmac_f64_e32 v[10:11], s[28:29], v[14:15]
	v_add_f64 v[4:5], v[82:83], v[86:87]
	v_add_f64 v[14:15], v[82:83], -v[86:87]
	v_mul_f64 v[82:83], v[18:19], s[22:23]
	v_add_f64 v[2:3], v[10:11], v[2:3]
	v_add_f64 v[10:11], v[84:85], v[88:89]
	v_fma_f64 v[84:85], s[24:25], v[4:5], v[82:83]
	v_add_f64 v[8:9], v[84:85], v[8:9]
	v_mul_f64 v[84:85], v[10:11], s[24:25]
	v_fma_f64 v[82:83], v[4:5], s[24:25], -v[82:83]
	v_fma_f64 v[86:87], s[26:27], v[14:15], v[84:85]
	v_add_f64 v[6:7], v[82:83], v[6:7]
	v_fmac_f64_e32 v[84:85], s[22:23], v[14:15]
	v_mul_f64 v[82:83], v[18:19], s[34:35]
	v_add_f64 v[12:13], v[84:85], v[12:13]
	v_fma_f64 v[84:85], s[30:31], v[4:5], v[82:83]
	v_add_f64 v[20:21], v[84:85], v[20:21]
	v_mul_f64 v[84:85], v[10:11], s[30:31]
	v_fma_f64 v[82:83], v[4:5], s[30:31], -v[82:83]
	v_add_f64 v[22:23], v[86:87], v[22:23]
	v_fma_f64 v[86:87], s[28:29], v[14:15], v[84:85]
	v_add_f64 v[16:17], v[82:83], v[16:17]
	v_fmac_f64_e32 v[84:85], s[34:35], v[14:15]
	v_mul_f64 v[82:83], v[18:19], s[20:21]
	v_add_f64 v[24:25], v[84:85], v[24:25]
	v_fma_f64 v[84:85], s[18:19], v[4:5], v[82:83]
	v_add_f64 v[28:29], v[84:85], v[28:29]
	v_mul_f64 v[84:85], v[10:11], s[18:19]
	v_fma_f64 v[82:83], v[4:5], s[18:19], -v[82:83]
	v_add_f64 v[30:31], v[86:87], v[30:31]
	;; [unrolled: 10-line block ×3, first 2 shown]
	v_fma_f64 v[86:87], s[8:9], v[14:15], v[84:85]
	v_add_f64 v[34:35], v[82:83], v[34:35]
	v_fmac_f64_e32 v[84:85], s[0:1], v[14:15]
	v_mul_f64 v[82:83], v[18:19], s[40:41]
	v_add_f64 v[40:41], v[84:85], v[40:41]
	v_fma_f64 v[84:85], s[38:39], v[4:5], v[82:83]
	v_add_f64 v[58:59], v[84:85], v[58:59]
	v_mul_f64 v[84:85], v[10:11], s[38:39]
	v_add_f64 v[56:57], v[86:87], v[56:57]
	v_fma_f64 v[86:87], s[36:37], v[14:15], v[84:85]
	v_fma_f64 v[82:83], v[4:5], s[38:39], -v[82:83]
	v_fmac_f64_e32 v[84:85], s[40:41], v[14:15]
	v_mul_f64 v[18:19], v[18:19], s[14:15]
	v_add_f64 v[42:43], v[82:83], v[42:43]
	v_add_f64 v[82:83], v[84:85], v[90:91]
	v_fma_f64 v[84:85], s[12:13], v[4:5], v[18:19]
	v_mul_f64 v[10:11], v[10:11], s[12:13]
	v_fma_f64 v[4:5], v[4:5], s[12:13], -v[18:19]
	v_add_f64 v[18:19], v[76:77], -v[80:81]
	v_fma_f64 v[88:89], s[10:11], v[14:15], v[10:11]
	v_add_f64 v[0:1], v[4:5], v[0:1]
	v_fmac_f64_e32 v[10:11], s[14:15], v[14:15]
	v_add_f64 v[4:5], v[74:75], v[78:79]
	v_add_f64 v[14:15], v[74:75], -v[78:79]
	v_mul_f64 v[74:75], v[18:19], s[28:29]
	v_add_f64 v[2:3], v[10:11], v[2:3]
	v_add_f64 v[10:11], v[76:77], v[80:81]
	v_fma_f64 v[76:77], s[30:31], v[4:5], v[74:75]
	v_add_f64 v[8:9], v[76:77], v[8:9]
	v_mul_f64 v[76:77], v[10:11], s[30:31]
	v_fma_f64 v[74:75], v[4:5], s[30:31], -v[74:75]
	v_fma_f64 v[78:79], s[34:35], v[14:15], v[76:77]
	v_add_f64 v[6:7], v[74:75], v[6:7]
	v_fmac_f64_e32 v[76:77], s[28:29], v[14:15]
	v_mul_f64 v[74:75], v[18:19], s[8:9]
	v_add_f64 v[12:13], v[76:77], v[12:13]
	v_fma_f64 v[76:77], s[2:3], v[4:5], v[74:75]
	v_add_f64 v[20:21], v[76:77], v[20:21]
	v_mul_f64 v[76:77], v[10:11], s[2:3]
	v_fma_f64 v[74:75], v[4:5], s[2:3], -v[74:75]
	v_add_f64 v[22:23], v[78:79], v[22:23]
	v_fma_f64 v[78:79], s[0:1], v[14:15], v[76:77]
	v_add_f64 v[16:17], v[74:75], v[16:17]
	v_fmac_f64_e32 v[76:77], s[8:9], v[14:15]
	v_mul_f64 v[74:75], v[18:19], s[10:11]
	v_add_f64 v[24:25], v[76:77], v[24:25]
	v_fma_f64 v[76:77], s[12:13], v[4:5], v[74:75]
	v_add_f64 v[28:29], v[76:77], v[28:29]
	v_mul_f64 v[76:77], v[10:11], s[12:13]
	v_fma_f64 v[74:75], v[4:5], s[12:13], -v[74:75]
	v_add_f64 v[30:31], v[78:79], v[30:31]
	v_fma_f64 v[78:79], s[14:15], v[14:15], v[76:77]
	v_add_f64 v[26:27], v[74:75], v[26:27]
	v_fmac_f64_e32 v[76:77], s[10:11], v[14:15]
	v_mul_f64 v[74:75], v[18:19], s[40:41]
	v_add_f64 v[32:33], v[76:77], v[32:33]
	v_fma_f64 v[76:77], s[38:39], v[4:5], v[74:75]
	v_add_f64 v[36:37], v[76:77], v[36:37]
	v_mul_f64 v[76:77], v[10:11], s[38:39]
	v_add_f64 v[38:39], v[78:79], v[38:39]
	v_fma_f64 v[78:79], s[36:37], v[14:15], v[76:77]
	v_add_f64 v[78:79], v[78:79], v[56:57]
	v_fma_f64 v[56:57], v[4:5], s[38:39], -v[74:75]
	v_add_f64 v[34:35], v[56:57], v[34:35]
	v_mul_f64 v[56:57], v[18:19], s[20:21]
	v_add_f64 v[102:103], v[102:103], v[110:111]
	v_add_f64 v[104:105], v[104:105], v[112:113]
	v_fma_f64 v[74:75], s[18:19], v[4:5], v[56:57]
	v_fma_f64 v[56:57], v[4:5], s[18:19], -v[56:57]
	v_mul_f64 v[18:19], v[18:19], s[22:23]
	v_add_f64 v[92:93], v[92:93], v[102:103]
	v_add_f64 v[96:97], v[96:97], v[104:105]
	v_add_f64 v[42:43], v[56:57], v[42:43]
	v_fma_f64 v[56:57], s[24:25], v[4:5], v[18:19]
	v_fma_f64 v[4:5], v[4:5], s[24:25], -v[18:19]
	v_add_f64 v[102:103], v[68:69], -v[72:73]
	v_add_f64 v[88:89], v[88:89], v[96:97]
	v_add_f64 v[18:19], v[4:5], v[0:1]
	;; [unrolled: 1-line block ×3, first 2 shown]
	v_mul_f64 v[4:5], v[102:103], s[36:37]
	v_add_f64 v[100:101], v[100:101], v[108:109]
	v_add_f64 v[84:85], v[84:85], v[92:93]
	;; [unrolled: 1-line block ×3, first 2 shown]
	v_mul_f64 v[58:59], v[10:11], s[18:19]
	v_mul_f64 v[10:11], v[10:11], s[24:25]
	v_add_f64 v[98:99], v[68:69], v[72:73]
	v_fma_f64 v[0:1], s[38:39], v[96:97], v[4:5]
	v_add_f64 v[94:95], v[94:95], v[100:101]
	v_add_f64 v[92:93], v[56:57], v[84:85]
	v_fma_f64 v[56:57], s[26:27], v[14:15], v[10:11]
	v_fmac_f64_e32 v[10:11], s[22:23], v[14:15]
	v_add_f64 v[100:101], v[66:67], -v[70:71]
	v_add_f64 v[0:1], v[0:1], v[8:9]
	v_mul_f64 v[8:9], v[98:99], s[38:39]
	v_add_f64 v[86:87], v[86:87], v[94:95]
	v_add_f64 v[94:95], v[10:11], v[2:3]
	v_fma_f64 v[2:3], s[40:41], v[100:101], v[8:9]
	v_fma_f64 v[4:5], v[96:97], s[38:39], -v[4:5]
	v_fmac_f64_e32 v[8:9], s[36:37], v[100:101]
	v_add_f64 v[4:5], v[4:5], v[6:7]
	v_add_f64 v[6:7], v[8:9], v[12:13]
	v_mul_f64 v[12:13], v[102:103], s[20:21]
	v_fma_f64 v[8:9], s[18:19], v[96:97], v[12:13]
	v_fma_f64 v[12:13], v[96:97], s[18:19], -v[12:13]
	v_add_f64 v[12:13], v[12:13], v[16:17]
	v_mul_f64 v[16:17], v[102:103], s[28:29]
	v_add_f64 v[8:9], v[8:9], v[20:21]
	v_fma_f64 v[20:21], s[30:31], v[96:97], v[16:17]
	v_add_f64 v[88:89], v[56:57], v[88:89]
	v_add_f64 v[56:57], v[20:21], v[28:29]
	v_mul_f64 v[20:21], v[98:99], s[30:31]
	v_fma_f64 v[16:17], v[96:97], s[30:31], -v[16:17]
	v_add_f64 v[2:3], v[2:3], v[22:23]
	v_fma_f64 v[22:23], s[34:35], v[100:101], v[20:21]
	v_add_f64 v[66:67], v[16:17], v[26:27]
	v_fmac_f64_e32 v[20:21], s[28:29], v[100:101]
	v_mul_f64 v[16:17], v[102:103], s[14:15]
	v_add_f64 v[68:69], v[20:21], v[32:33]
	v_fma_f64 v[20:21], s[12:13], v[96:97], v[16:17]
	v_fmac_f64_e32 v[76:77], s[40:41], v[14:15]
	v_fma_f64 v[74:75], s[16:17], v[14:15], v[58:59]
	v_fmac_f64_e32 v[58:59], s[20:21], v[14:15]
	v_add_f64 v[70:71], v[20:21], v[36:37]
	v_mul_f64 v[20:21], v[98:99], s[12:13]
	v_fma_f64 v[16:17], v[96:97], s[12:13], -v[16:17]
	v_add_f64 v[40:41], v[76:77], v[40:41]
	v_add_f64 v[86:87], v[74:75], v[86:87]
	;; [unrolled: 1-line block ×4, first 2 shown]
	v_fma_f64 v[22:23], s[10:11], v[100:101], v[20:21]
	v_add_f64 v[74:75], v[16:17], v[34:35]
	v_fmac_f64_e32 v[20:21], s[14:15], v[100:101]
	v_mul_f64 v[16:17], v[102:103], s[22:23]
	v_add_f64 v[76:77], v[20:21], v[40:41]
	v_fma_f64 v[20:21], s[24:25], v[96:97], v[16:17]
	v_add_f64 v[72:73], v[22:23], v[78:79]
	v_add_f64 v[78:79], v[20:21], v[80:81]
	v_mul_f64 v[20:21], v[98:99], s[24:25]
	v_fma_f64 v[16:17], v[96:97], s[24:25], -v[16:17]
	v_fma_f64 v[22:23], s[26:27], v[100:101], v[20:21]
	v_add_f64 v[82:83], v[16:17], v[42:43]
	v_fmac_f64_e32 v[20:21], s[22:23], v[100:101]
	v_mul_f64 v[16:17], v[102:103], s[8:9]
	v_add_f64 v[84:85], v[20:21], v[90:91]
	v_fma_f64 v[20:21], s[2:3], v[96:97], v[16:17]
	v_mul_f64 v[14:15], v[98:99], s[18:19]
	v_add_f64 v[80:81], v[22:23], v[86:87]
	v_add_f64 v[86:87], v[20:21], v[92:93]
	v_mul_f64 v[20:21], v[98:99], s[2:3]
	v_fma_f64 v[10:11], s[16:17], v[100:101], v[14:15]
	v_fmac_f64_e32 v[14:15], s[20:21], v[100:101]
	v_fma_f64 v[22:23], s[0:1], v[100:101], v[20:21]
	v_fma_f64 v[16:17], v[96:97], s[2:3], -v[16:17]
	v_fmac_f64_e32 v[20:21], s[8:9], v[100:101]
	v_add_f64 v[10:11], v[10:11], v[30:31]
	v_add_f64 v[14:15], v[14:15], v[24:25]
	v_add_f64 v[88:89], v[22:23], v[88:89]
	v_add_f64 v[90:91], v[16:17], v[18:19]
	v_add_f64 v[92:93], v[20:21], v[94:95]
	ds_write_b128 v240, v[52:55]
	ds_write_b128 v240, v[0:3] offset:1872
	ds_write_b128 v240, v[8:11] offset:3744
	;; [unrolled: 1-line block ×12, first 2 shown]
	s_waitcnt lgkmcnt(0)
	s_barrier
	ds_read_b128 v[0:3], v240
	v_mov_b32_e32 v64, v63
	v_accvgpr_read_b32 v10, a24
	v_mad_u64_u32 v[4:5], s[0:1], s7, v244, v[64:65]
	v_accvgpr_read_b32 v12, a26
	v_accvgpr_read_b32 v13, a27
	v_mov_b32_e32 v63, v4
	ds_read_b128 v[4:7], v240 offset:1872
	v_accvgpr_read_b32 v11, a25
	s_waitcnt lgkmcnt(1)
	v_mul_f64 v[8:9], v[12:13], v[2:3]
	v_fmac_f64_e32 v[8:9], v[10:11], v[0:1]
	s_mov_b32 s0, 0x509ee28c
	v_mul_f64 v[0:1], v[12:13], v[0:1]
	s_mov_b32 s1, 0x3f458b31
	v_fma_f64 v[0:1], v[10:11], v[2:3], -v[0:1]
	v_mul_f64 v[10:11], v[0:1], s[0:1]
	v_mad_u64_u32 v[0:1], s[2:3], s4, v242, 0
	v_mov_b32_e32 v2, v1
	v_mad_u64_u32 v[2:3], s[2:3], s5, v242, v[2:3]
	v_mov_b32_e32 v1, v2
	v_lshl_add_u64 v[2:3], v[62:63], 4, v[60:61]
	v_mul_f64 v[8:9], v[8:9], s[0:1]
	v_lshl_add_u64 v[12:13], v[0:1], 4, v[2:3]
	global_store_dwordx4 v[12:13], v[8:11], off
	v_mov_b32_e32 v14, 0x750
	v_mad_u64_u32 v[12:13], s[2:3], s4, v14, v[12:13]
	v_accvgpr_read_b32 v8, a12
	v_accvgpr_read_b32 v10, a14
	v_accvgpr_read_b32 v11, a15
	v_accvgpr_read_b32 v9, a13
	s_waitcnt lgkmcnt(0)
	v_mul_f64 v[0:1], v[10:11], v[6:7]
	v_mul_f64 v[2:3], v[10:11], v[4:5]
	v_fmac_f64_e32 v[0:1], v[8:9], v[4:5]
	v_fma_f64 v[2:3], v[8:9], v[6:7], -v[2:3]
	ds_read_b128 v[4:7], v240 offset:3744
	s_mul_i32 s2, s5, 0x750
	v_accvgpr_read_b32 v19, a3
	v_mul_f64 v[0:1], v[0:1], s[0:1]
	v_mul_f64 v[2:3], v[2:3], s[0:1]
	v_add_u32_e32 v13, s2, v13
	v_accvgpr_read_b32 v18, a2
	global_store_dwordx4 v[12:13], v[0:3], off
	ds_read_b128 v[0:3], v240 offset:5616
	v_accvgpr_read_b32 v17, a1
	v_accvgpr_read_b32 v16, a0
	s_waitcnt lgkmcnt(1)
	v_mul_f64 v[8:9], v[18:19], v[6:7]
	v_fmac_f64_e32 v[8:9], v[16:17], v[4:5]
	v_mul_f64 v[4:5], v[18:19], v[4:5]
	v_fma_f64 v[4:5], v[16:17], v[6:7], -v[4:5]
	v_mad_u64_u32 v[12:13], s[6:7], s4, v14, v[12:13]
	v_mul_f64 v[8:9], v[8:9], s[0:1]
	v_mul_f64 v[10:11], v[4:5], s[0:1]
	v_add_u32_e32 v13, s2, v13
	global_store_dwordx4 v[12:13], v[8:11], off
	v_accvgpr_read_b32 v6, a36
	v_accvgpr_read_b32 v7, a37
	;; [unrolled: 1-line block ×4, first 2 shown]
	s_waitcnt lgkmcnt(0)
	v_mul_f64 v[4:5], v[8:9], v[2:3]
	v_fmac_f64_e32 v[4:5], v[6:7], v[0:1]
	v_mul_f64 v[0:1], v[8:9], v[0:1]
	v_fma_f64 v[0:1], v[6:7], v[2:3], -v[0:1]
	v_mul_f64 v[6:7], v[0:1], s[0:1]
	ds_read_b128 v[0:3], v240 offset:7488
	v_mad_u64_u32 v[12:13], s[6:7], s4, v14, v[12:13]
	v_accvgpr_read_b32 v19, a7
	v_mul_f64 v[4:5], v[4:5], s[0:1]
	v_add_u32_e32 v13, s2, v13
	v_accvgpr_read_b32 v18, a6
	global_store_dwordx4 v[12:13], v[4:7], off
	ds_read_b128 v[4:7], v240 offset:9360
	v_accvgpr_read_b32 v17, a5
	v_accvgpr_read_b32 v16, a4
	s_waitcnt lgkmcnt(1)
	v_mul_f64 v[8:9], v[18:19], v[2:3]
	v_fmac_f64_e32 v[8:9], v[16:17], v[0:1]
	v_mul_f64 v[0:1], v[18:19], v[0:1]
	v_fma_f64 v[0:1], v[16:17], v[2:3], -v[0:1]
	v_mad_u64_u32 v[12:13], s[6:7], s4, v14, v[12:13]
	v_mul_f64 v[8:9], v[8:9], s[0:1]
	v_mul_f64 v[10:11], v[0:1], s[0:1]
	v_add_u32_e32 v13, s2, v13
	global_store_dwordx4 v[12:13], v[8:11], off
	v_mad_u64_u32 v[12:13], s[6:7], s4, v14, v[12:13]
	s_nop 0
	v_accvgpr_read_b32 v8, a40
	v_accvgpr_read_b32 v10, a42
	v_accvgpr_read_b32 v11, a43
	v_accvgpr_read_b32 v9, a41
	s_waitcnt lgkmcnt(0)
	v_mul_f64 v[0:1], v[10:11], v[6:7]
	v_mul_f64 v[2:3], v[10:11], v[4:5]
	v_fmac_f64_e32 v[0:1], v[8:9], v[4:5]
	v_fma_f64 v[2:3], v[8:9], v[6:7], -v[2:3]
	ds_read_b128 v[4:7], v240 offset:11232
	v_mul_f64 v[0:1], v[0:1], s[0:1]
	v_mul_f64 v[2:3], v[2:3], s[0:1]
	v_add_u32_e32 v13, s2, v13
	global_store_dwordx4 v[12:13], v[0:3], off
	ds_read_b128 v[0:3], v240 offset:13104
	v_accvgpr_read_b32 v19, a11
	v_accvgpr_read_b32 v18, a10
	;; [unrolled: 1-line block ×4, first 2 shown]
	s_waitcnt lgkmcnt(1)
	v_mul_f64 v[8:9], v[18:19], v[6:7]
	v_fmac_f64_e32 v[8:9], v[16:17], v[4:5]
	v_mul_f64 v[4:5], v[18:19], v[4:5]
	v_fma_f64 v[4:5], v[16:17], v[6:7], -v[4:5]
	v_mul_f64 v[10:11], v[4:5], s[0:1]
	s_waitcnt lgkmcnt(0)
	v_mul_f64 v[4:5], v[46:47], v[2:3]
	v_fmac_f64_e32 v[4:5], v[44:45], v[0:1]
	v_mul_f64 v[0:1], v[46:47], v[0:1]
	v_mad_u64_u32 v[12:13], s[6:7], s4, v14, v[12:13]
	v_fma_f64 v[0:1], v[44:45], v[2:3], -v[0:1]
	v_mul_f64 v[8:9], v[8:9], s[0:1]
	v_add_u32_e32 v13, s2, v13
	v_mul_f64 v[6:7], v[0:1], s[0:1]
	ds_read_b128 v[0:3], v240 offset:14976
	global_store_dwordx4 v[12:13], v[8:11], off
	v_mad_u64_u32 v[12:13], s[6:7], s4, v14, v[12:13]
	v_mul_f64 v[4:5], v[4:5], s[0:1]
	v_add_u32_e32 v13, s2, v13
	global_store_dwordx4 v[12:13], v[4:7], off
	ds_read_b128 v[4:7], v240 offset:16848
	v_accvgpr_read_b32 v16, a16
	v_accvgpr_read_b32 v18, a18
	;; [unrolled: 1-line block ×4, first 2 shown]
	s_waitcnt lgkmcnt(1)
	v_mul_f64 v[8:9], v[18:19], v[2:3]
	v_fmac_f64_e32 v[8:9], v[16:17], v[0:1]
	v_mul_f64 v[0:1], v[18:19], v[0:1]
	v_fma_f64 v[0:1], v[16:17], v[2:3], -v[0:1]
	v_mul_f64 v[10:11], v[0:1], s[0:1]
	s_waitcnt lgkmcnt(0)
	v_mul_f64 v[0:1], v[50:51], v[6:7]
	v_mul_f64 v[2:3], v[50:51], v[4:5]
	v_fmac_f64_e32 v[0:1], v[48:49], v[4:5]
	v_fma_f64 v[2:3], v[48:49], v[6:7], -v[2:3]
	ds_read_b128 v[4:7], v240 offset:18720
	v_mad_u64_u32 v[12:13], s[6:7], s4, v14, v[12:13]
	v_mul_f64 v[8:9], v[8:9], s[0:1]
	v_add_u32_e32 v13, s2, v13
	global_store_dwordx4 v[12:13], v[8:11], off
	v_mad_u64_u32 v[12:13], s[6:7], s4, v14, v[12:13]
	v_accvgpr_read_b32 v16, a20
	v_mul_f64 v[0:1], v[0:1], s[0:1]
	v_mul_f64 v[2:3], v[2:3], s[0:1]
	v_add_u32_e32 v13, s2, v13
	v_accvgpr_read_b32 v18, a22
	v_accvgpr_read_b32 v19, a23
	global_store_dwordx4 v[12:13], v[0:3], off
	ds_read_b128 v[0:3], v240 offset:20592
	v_accvgpr_read_b32 v17, a21
	s_waitcnt lgkmcnt(1)
	v_mul_f64 v[8:9], v[18:19], v[6:7]
	v_fmac_f64_e32 v[8:9], v[16:17], v[4:5]
	v_mul_f64 v[4:5], v[18:19], v[4:5]
	v_fma_f64 v[4:5], v[16:17], v[6:7], -v[4:5]
	v_mad_u64_u32 v[12:13], s[6:7], s4, v14, v[12:13]
	v_mul_f64 v[8:9], v[8:9], s[0:1]
	v_mul_f64 v[10:11], v[4:5], s[0:1]
	v_add_u32_e32 v13, s2, v13
	global_store_dwordx4 v[12:13], v[8:11], off
	v_accvgpr_read_b32 v6, a28
	v_accvgpr_read_b32 v7, a29
	;; [unrolled: 1-line block ×4, first 2 shown]
	s_waitcnt lgkmcnt(0)
	v_mul_f64 v[4:5], v[8:9], v[2:3]
	v_fmac_f64_e32 v[4:5], v[6:7], v[0:1]
	v_mul_f64 v[0:1], v[8:9], v[0:1]
	v_fma_f64 v[0:1], v[6:7], v[2:3], -v[0:1]
	v_mul_f64 v[6:7], v[0:1], s[0:1]
	ds_read_b128 v[0:3], v240 offset:22464
	v_mad_u64_u32 v[8:9], s[6:7], s4, v14, v[12:13]
	v_accvgpr_read_b32 v10, a32
	v_mul_f64 v[4:5], v[4:5], s[0:1]
	v_add_u32_e32 v9, s2, v9
	v_accvgpr_read_b32 v12, a34
	v_accvgpr_read_b32 v13, a35
	global_store_dwordx4 v[8:9], v[4:7], off
	v_accvgpr_read_b32 v11, a33
	s_waitcnt lgkmcnt(0)
	v_mul_f64 v[4:5], v[12:13], v[2:3]
	v_fmac_f64_e32 v[4:5], v[10:11], v[0:1]
	v_mul_f64 v[0:1], v[12:13], v[0:1]
	v_fma_f64 v[0:1], v[10:11], v[2:3], -v[0:1]
	v_mul_f64 v[4:5], v[4:5], s[0:1]
	v_mul_f64 v[6:7], v[0:1], s[0:1]
	v_mad_u64_u32 v[0:1], s[0:1], s4, v14, v[8:9]
	v_add_u32_e32 v1, s2, v1
	global_store_dwordx4 v[0:1], v[4:7], off
.LBB0_18:
	s_endpgm
	.section	.rodata,"a",@progbits
	.p2align	6, 0x0
	.amdhsa_kernel bluestein_single_back_len1521_dim1_dp_op_CI_CI
		.amdhsa_group_segment_fixed_size 24336
		.amdhsa_private_segment_fixed_size 0
		.amdhsa_kernarg_size 104
		.amdhsa_user_sgpr_count 2
		.amdhsa_user_sgpr_dispatch_ptr 0
		.amdhsa_user_sgpr_queue_ptr 0
		.amdhsa_user_sgpr_kernarg_segment_ptr 1
		.amdhsa_user_sgpr_dispatch_id 0
		.amdhsa_user_sgpr_kernarg_preload_length 0
		.amdhsa_user_sgpr_kernarg_preload_offset 0
		.amdhsa_user_sgpr_private_segment_size 0
		.amdhsa_uses_dynamic_stack 0
		.amdhsa_enable_private_segment 0
		.amdhsa_system_sgpr_workgroup_id_x 1
		.amdhsa_system_sgpr_workgroup_id_y 0
		.amdhsa_system_sgpr_workgroup_id_z 0
		.amdhsa_system_sgpr_workgroup_info 0
		.amdhsa_system_vgpr_workitem_id 0
		.amdhsa_next_free_vgpr 309
		.amdhsa_next_free_sgpr 46
		.amdhsa_accum_offset 256
		.amdhsa_reserve_vcc 1
		.amdhsa_float_round_mode_32 0
		.amdhsa_float_round_mode_16_64 0
		.amdhsa_float_denorm_mode_32 3
		.amdhsa_float_denorm_mode_16_64 3
		.amdhsa_dx10_clamp 1
		.amdhsa_ieee_mode 1
		.amdhsa_fp16_overflow 0
		.amdhsa_tg_split 0
		.amdhsa_exception_fp_ieee_invalid_op 0
		.amdhsa_exception_fp_denorm_src 0
		.amdhsa_exception_fp_ieee_div_zero 0
		.amdhsa_exception_fp_ieee_overflow 0
		.amdhsa_exception_fp_ieee_underflow 0
		.amdhsa_exception_fp_ieee_inexact 0
		.amdhsa_exception_int_div_zero 0
	.end_amdhsa_kernel
	.text
.Lfunc_end0:
	.size	bluestein_single_back_len1521_dim1_dp_op_CI_CI, .Lfunc_end0-bluestein_single_back_len1521_dim1_dp_op_CI_CI
                                        ; -- End function
	.section	.AMDGPU.csdata,"",@progbits
; Kernel info:
; codeLenInByte = 24336
; NumSgprs: 52
; NumVgprs: 256
; NumAgprs: 53
; TotalNumVgprs: 309
; ScratchSize: 0
; MemoryBound: 0
; FloatMode: 240
; IeeeMode: 1
; LDSByteSize: 24336 bytes/workgroup (compile time only)
; SGPRBlocks: 6
; VGPRBlocks: 38
; NumSGPRsForWavesPerEU: 52
; NumVGPRsForWavesPerEU: 309
; AccumOffset: 256
; Occupancy: 1
; WaveLimiterHint : 1
; COMPUTE_PGM_RSRC2:SCRATCH_EN: 0
; COMPUTE_PGM_RSRC2:USER_SGPR: 2
; COMPUTE_PGM_RSRC2:TRAP_HANDLER: 0
; COMPUTE_PGM_RSRC2:TGID_X_EN: 1
; COMPUTE_PGM_RSRC2:TGID_Y_EN: 0
; COMPUTE_PGM_RSRC2:TGID_Z_EN: 0
; COMPUTE_PGM_RSRC2:TIDIG_COMP_CNT: 0
; COMPUTE_PGM_RSRC3_GFX90A:ACCUM_OFFSET: 63
; COMPUTE_PGM_RSRC3_GFX90A:TG_SPLIT: 0
	.text
	.p2alignl 6, 3212836864
	.fill 256, 4, 3212836864
	.type	__hip_cuid_4436af1e7ee3d1ef,@object ; @__hip_cuid_4436af1e7ee3d1ef
	.section	.bss,"aw",@nobits
	.globl	__hip_cuid_4436af1e7ee3d1ef
__hip_cuid_4436af1e7ee3d1ef:
	.byte	0                               ; 0x0
	.size	__hip_cuid_4436af1e7ee3d1ef, 1

	.ident	"AMD clang version 19.0.0git (https://github.com/RadeonOpenCompute/llvm-project roc-6.4.0 25133 c7fe45cf4b819c5991fe208aaa96edf142730f1d)"
	.section	".note.GNU-stack","",@progbits
	.addrsig
	.addrsig_sym __hip_cuid_4436af1e7ee3d1ef
	.amdgpu_metadata
---
amdhsa.kernels:
  - .agpr_count:     53
    .args:
      - .actual_access:  read_only
        .address_space:  global
        .offset:         0
        .size:           8
        .value_kind:     global_buffer
      - .actual_access:  read_only
        .address_space:  global
        .offset:         8
        .size:           8
        .value_kind:     global_buffer
      - .actual_access:  read_only
        .address_space:  global
        .offset:         16
        .size:           8
        .value_kind:     global_buffer
      - .actual_access:  read_only
        .address_space:  global
        .offset:         24
        .size:           8
        .value_kind:     global_buffer
      - .actual_access:  read_only
        .address_space:  global
        .offset:         32
        .size:           8
        .value_kind:     global_buffer
      - .offset:         40
        .size:           8
        .value_kind:     by_value
      - .address_space:  global
        .offset:         48
        .size:           8
        .value_kind:     global_buffer
      - .address_space:  global
        .offset:         56
        .size:           8
        .value_kind:     global_buffer
      - .address_space:  global
        .offset:         64
        .size:           8
        .value_kind:     global_buffer
      - .address_space:  global
        .offset:         72
        .size:           8
        .value_kind:     global_buffer
      - .offset:         80
        .size:           4
        .value_kind:     by_value
      - .address_space:  global
        .offset:         88
        .size:           8
        .value_kind:     global_buffer
      - .address_space:  global
        .offset:         96
        .size:           8
        .value_kind:     global_buffer
    .group_segment_fixed_size: 24336
    .kernarg_segment_align: 8
    .kernarg_segment_size: 104
    .language:       OpenCL C
    .language_version:
      - 2
      - 0
    .max_flat_workgroup_size: 117
    .name:           bluestein_single_back_len1521_dim1_dp_op_CI_CI
    .private_segment_fixed_size: 0
    .sgpr_count:     52
    .sgpr_spill_count: 0
    .symbol:         bluestein_single_back_len1521_dim1_dp_op_CI_CI.kd
    .uniform_work_group_size: 1
    .uses_dynamic_stack: false
    .vgpr_count:     309
    .vgpr_spill_count: 0
    .wavefront_size: 64
amdhsa.target:   amdgcn-amd-amdhsa--gfx950
amdhsa.version:
  - 1
  - 2
...

	.end_amdgpu_metadata
